;; amdgpu-corpus repo=ROCm/rocFFT kind=compiled arch=gfx1201 opt=O3
	.text
	.amdgcn_target "amdgcn-amd-amdhsa--gfx1201"
	.amdhsa_code_object_version 6
	.protected	bluestein_single_back_len2028_dim1_sp_op_CI_CI ; -- Begin function bluestein_single_back_len2028_dim1_sp_op_CI_CI
	.globl	bluestein_single_back_len2028_dim1_sp_op_CI_CI
	.p2align	8
	.type	bluestein_single_back_len2028_dim1_sp_op_CI_CI,@function
bluestein_single_back_len2028_dim1_sp_op_CI_CI: ; @bluestein_single_back_len2028_dim1_sp_op_CI_CI
; %bb.0:
	s_load_b128 s[12:15], s[0:1], 0x28
	v_mul_u32_u24_e32 v1, 0x1a5, v0
	s_mov_b32 s2, exec_lo
	v_mov_b32_e32 v97, 0
	s_delay_alu instid0(VALU_DEP_2) | instskip(NEXT) | instid1(VALU_DEP_1)
	v_lshrrev_b32_e32 v1, 16, v1
	v_add_nc_u32_e32 v96, ttmp9, v1
	s_wait_kmcnt 0x0
	s_delay_alu instid0(VALU_DEP_1)
	v_cmpx_gt_u64_e64 s[12:13], v[96:97]
	s_cbranch_execz .LBB0_18
; %bb.1:
	s_clause 0x1
	s_load_b128 s[4:7], s[0:1], 0x18
	s_load_b128 s[8:11], s[0:1], 0x0
	v_mul_lo_u16 v1, 0x9c, v1
	s_delay_alu instid0(VALU_DEP_1) | instskip(NEXT) | instid1(VALU_DEP_1)
	v_sub_nc_u16 v42, v0, v1
	v_and_b32_e32 v128, 0xffff, v42
	s_wait_kmcnt 0x0
	s_load_b128 s[16:19], s[4:5], 0x0
	s_wait_kmcnt 0x0
	v_mad_co_u64_u32 v[0:1], null, s18, v96, 0
	v_mad_co_u64_u32 v[2:3], null, s16, v128, 0
	s_mul_u64 s[2:3], s[16:17], 0x4e0
	s_delay_alu instid0(VALU_DEP_1) | instskip(NEXT) | instid1(VALU_DEP_1)
	v_mad_co_u64_u32 v[4:5], null, s19, v96, v[1:2]
	v_mov_b32_e32 v1, v4
	s_delay_alu instid0(VALU_DEP_3)
	v_mad_co_u64_u32 v[5:6], null, s17, v128, v[3:4]
	v_lshlrev_b32_e32 v127, 3, v128
	s_clause 0x3
	global_load_b64 v[107:108], v127, s[8:9]
	global_load_b64 v[109:110], v127, s[8:9] offset:1248
	global_load_b64 v[105:106], v127, s[8:9] offset:2496
	;; [unrolled: 1-line block ×3, first 2 shown]
	v_mov_b32_e32 v3, v5
	v_lshlrev_b64_e32 v[0:1], 3, v[0:1]
	s_clause 0x6
	global_load_b64 v[103:104], v127, s[8:9] offset:4992
	global_load_b64 v[88:89], v127, s[8:9] offset:6240
	;; [unrolled: 1-line block ×7, first 2 shown]
	v_lshlrev_b64_e32 v[2:3], 3, v[2:3]
	v_add_co_u32 v0, vcc_lo, s14, v0
	v_add_co_ci_u32_e32 v1, vcc_lo, s15, v1, vcc_lo
	s_delay_alu instid0(VALU_DEP_2) | instskip(SKIP_1) | instid1(VALU_DEP_2)
	v_add_co_u32 v0, vcc_lo, v0, v2
	s_wait_alu 0xfffd
	v_add_co_ci_u32_e32 v1, vcc_lo, v1, v3, vcc_lo
	s_delay_alu instid0(VALU_DEP_2) | instskip(SKIP_1) | instid1(VALU_DEP_2)
	v_add_co_u32 v2, vcc_lo, v0, s2
	s_wait_alu 0xfffd
	v_add_co_ci_u32_e32 v3, vcc_lo, s3, v1, vcc_lo
	global_load_b64 v[0:1], v[0:1], off
	v_add_co_u32 v4, vcc_lo, v2, s2
	s_wait_alu 0xfffd
	v_add_co_ci_u32_e32 v5, vcc_lo, s3, v3, vcc_lo
	s_delay_alu instid0(VALU_DEP_2) | instskip(SKIP_1) | instid1(VALU_DEP_2)
	v_add_co_u32 v6, vcc_lo, v4, s2
	s_wait_alu 0xfffd
	v_add_co_ci_u32_e32 v7, vcc_lo, s3, v5, vcc_lo
	s_delay_alu instid0(VALU_DEP_2) | instskip(SKIP_1) | instid1(VALU_DEP_2)
	v_add_co_u32 v8, vcc_lo, v6, s2
	s_wait_alu 0xfffd
	v_add_co_ci_u32_e32 v9, vcc_lo, s3, v7, vcc_lo
	s_clause 0x2
	global_load_b64 v[2:3], v[2:3], off
	global_load_b64 v[4:5], v[4:5], off
	;; [unrolled: 1-line block ×3, first 2 shown]
	v_add_co_u32 v10, vcc_lo, v8, s2
	s_wait_alu 0xfffd
	v_add_co_ci_u32_e32 v11, vcc_lo, s3, v9, vcc_lo
	global_load_b64 v[8:9], v[8:9], off
	v_add_co_u32 v12, vcc_lo, v10, s2
	s_wait_alu 0xfffd
	v_add_co_ci_u32_e32 v13, vcc_lo, s3, v11, vcc_lo
	global_load_b64 v[10:11], v[10:11], off
	;; [unrolled: 4-line block ×7, first 2 shown]
	v_add_co_u32 v24, vcc_lo, v22, s2
	s_wait_alu 0xfffd
	v_add_co_ci_u32_e32 v25, vcc_lo, s3, v23, vcc_lo
	s_load_b64 s[2:3], s[0:1], 0x38
	v_cmp_gt_u16_e32 vcc_lo, 39, v42
	s_wait_loadcnt 0xa
	v_mul_f32_e32 v28, v1, v108
	v_mul_f32_e32 v29, v0, v108
	s_delay_alu instid0(VALU_DEP_2) | instskip(NEXT) | instid1(VALU_DEP_2)
	v_fmac_f32_e32 v28, v0, v107
	v_fma_f32 v29, v1, v107, -v29
	s_wait_loadcnt 0x9
	v_mul_f32_e32 v30, v3, v110
	global_load_b64 v[97:98], v127, s[8:9] offset:13728
	global_load_b64 v[26:27], v[22:23], off
	global_load_b64 v[99:100], v127, s[8:9] offset:14976
	global_load_b64 v[24:25], v[24:25], off
	v_add_nc_u32_e32 v32, 0x1200, v127
	v_add_nc_u32_e32 v23, 0x1c00, v127
	v_dual_fmac_f32 v30, v2, v109 :: v_dual_add_nc_u32 v33, 0x2400, v127
	v_dual_mul_f32 v1, v2, v110 :: v_dual_add_nc_u32 v34, 0x3000, v127
	s_wait_loadcnt 0xc
	v_mul_f32_e32 v0, v5, v106
	s_wait_loadcnt 0xb
	v_mul_f32_e32 v2, v7, v102
	v_mul_f32_e32 v35, v4, v106
	;; [unrolled: 1-line block ×3, first 2 shown]
	v_add_nc_u32_e32 v22, 0x800, v127
	v_fma_f32 v31, v3, v109, -v1
	v_fmac_f32_e32 v2, v6, v101
	v_fma_f32 v1, v5, v105, -v35
	v_fma_f32 v3, v7, v101, -v36
	s_wait_loadcnt 0xa
	v_mul_f32_e32 v5, v8, v104
	v_fmac_f32_e32 v0, v4, v105
	v_mul_f32_e32 v4, v9, v104
	ds_store_2addr_b64 v127, v[28:29], v[30:31] offset1:156
	s_wait_loadcnt 0x9
	v_mul_f32_e32 v6, v11, v89
	v_fma_f32 v5, v9, v103, -v5
	s_wait_loadcnt 0x7
	v_mul_f32_e32 v9, v14, v95
	ds_store_2addr_b64 v22, v[0:1], v[2:3] offset0:56 offset1:212
	v_mul_f32_e32 v1, v10, v89
	v_mul_f32_e32 v3, v12, v93
	;; [unrolled: 1-line block ×4, first 2 shown]
	s_load_b128 s[4:7], s[6:7], 0x0
	v_fma_f32 v7, v11, v88, -v1
	v_fma_f32 v1, v13, v92, -v3
	v_fma_f32 v3, v15, v94, -v9
	s_wait_loadcnt 0x6
	v_mul_f32_e32 v9, v16, v85
	s_wait_loadcnt 0x5
	v_mul_f32_e32 v11, v18, v91
	v_fmac_f32_e32 v4, v8, v103
	s_wait_loadcnt 0x4
	v_dual_mul_f32 v8, v17, v85 :: v_dual_mul_f32 v13, v20, v87
	v_fmac_f32_e32 v6, v10, v88
	v_mul_f32_e32 v10, v19, v91
	v_fmac_f32_e32 v2, v14, v94
	v_fma_f32 v9, v17, v84, -v9
	v_fmac_f32_e32 v8, v16, v84
	v_fma_f32 v11, v19, v90, -v11
	;; [unrolled: 2-line block ×3, first 2 shown]
	s_wait_loadcnt 0x2
	v_mul_f32_e32 v14, v27, v98
	v_mul_f32_e32 v15, v26, v98
	s_wait_loadcnt 0x0
	v_mul_f32_e32 v17, v24, v100
	v_fmac_f32_e32 v0, v12, v92
	v_mul_f32_e32 v12, v21, v87
	v_mul_f32_e32 v16, v25, v100
	v_fmac_f32_e32 v14, v26, v97
	v_fma_f32 v15, v27, v97, -v15
	v_fma_f32 v17, v25, v99, -v17
	v_fmac_f32_e32 v12, v20, v86
	v_fmac_f32_e32 v16, v24, v99
	ds_store_2addr_b64 v32, v[4:5], v[6:7] offset0:48 offset1:204
	ds_store_2addr_b64 v23, v[0:1], v[2:3] offset0:40 offset1:196
	;; [unrolled: 1-line block ×4, first 2 shown]
	ds_store_b64 v127, v[16:17] offset:14976
	global_wb scope:SCOPE_SE
	s_wait_dscnt 0x0
	s_wait_kmcnt 0x0
	s_barrier_signal -1
	s_barrier_wait -1
	global_inv scope:SCOPE_SE
	ds_load_2addr_b64 v[8:11], v127 offset1:156
	ds_load_b64 v[20:21], v127 offset:14976
	ds_load_2addr_b64 v[16:19], v22 offset0:56 offset1:212
	ds_load_2addr_b64 v[0:3], v34 offset0:24 offset1:180
	;; [unrolled: 1-line block ×5, first 2 shown]
	global_wb scope:SCOPE_SE
	s_wait_dscnt 0x0
	s_barrier_signal -1
	s_barrier_wait -1
	global_inv scope:SCOPE_SE
	v_add_f32_e32 v27, v8, v10
	v_dual_add_f32 v29, v20, v10 :: v_dual_sub_f32 v10, v10, v20
	v_dual_add_f32 v28, v9, v11 :: v_dual_add_f32 v31, v2, v16
	v_sub_f32_e32 v33, v16, v2
	v_sub_f32_e32 v37, v18, v0
	s_delay_alu instid0(VALU_DEP_4) | instskip(SKIP_4) | instid1(VALU_DEP_4)
	v_dual_mul_f32 v53, 0xbf52af12, v10 :: v_dual_add_f32 v30, v21, v11
	v_sub_f32_e32 v11, v11, v21
	v_dual_sub_f32 v43, v13, v7 :: v_dual_add_f32 v16, v27, v16
	v_mul_f32_e32 v67, 0x3f29c268, v33
	v_sub_f32_e32 v41, v12, v6
	v_dual_mul_f32 v27, 0xbeedf032, v11 :: v_dual_add_f32 v32, v3, v17
	v_dual_mul_f32 v55, 0xbf7e222b, v10 :: v_dual_sub_f32 v34, v17, v3
	v_mul_f32_e32 v57, 0xbf6f5d39, v10
	v_dual_add_f32 v17, v28, v17 :: v_dual_mul_f32 v28, 0xbeedf032, v10
	v_dual_mul_f32 v54, 0xbf7e222b, v11 :: v_dual_mul_f32 v71, 0xbf7e222b, v37
	v_dual_sub_f32 v46, v14, v4 :: v_dual_mul_f32 v63, 0xbf6f5d39, v33
	v_dual_mul_f32 v56, 0xbf6f5d39, v11 :: v_dual_mul_f32 v81, 0xbf6f5d39, v41
	v_dual_add_f32 v36, v1, v19 :: v_dual_mul_f32 v59, 0xbf29c268, v10
	v_sub_f32_e32 v38, v19, v1
	v_dual_add_f32 v40, v7, v13 :: v_dual_mul_f32 v111, 0x3eedf032, v43
	v_sub_f32_e32 v47, v15, v5
	v_dual_sub_f32 v49, v24, v26 :: v_dual_sub_f32 v50, v23, v25
	v_mul_f32_e32 v113, 0xbf7e222b, v43
	v_dual_mul_f32 v52, 0xbf52af12, v11 :: v_dual_mul_f32 v79, 0xbf52af12, v37
	v_mul_f32_e32 v58, 0xbf29c268, v11
	v_dual_mul_f32 v10, 0xbe750f2a, v10 :: v_dual_mul_f32 v73, 0xbe750f2a, v37
	v_dual_mul_f32 v60, 0xbf52af12, v34 :: v_dual_mul_f32 v119, 0xbf52af12, v47
	v_mul_f32_e32 v62, 0xbf6f5d39, v34
	v_dual_mul_f32 v64, 0xbe750f2a, v34 :: v_dual_mul_f32 v129, 0xbe750f2a, v49
	v_dual_mul_f32 v66, 0x3f29c268, v34 :: v_dual_mul_f32 v83, 0x3f29c268, v41
	;; [unrolled: 1-line block ×3, first 2 shown]
	v_mul_f32_e32 v34, 0x3eedf032, v34
	v_dual_mul_f32 v115, 0x3e750f2a, v43 :: v_dual_mul_f32 v116, 0x3e750f2a, v41
	v_dual_add_f32 v16, v16, v18 :: v_dual_add_f32 v17, v17, v19
	v_fmamk_f32 v19, v30, 0x3f62ad3f, v28
	v_fma_f32 v28, 0x3f62ad3f, v30, -v28
	v_fmamk_f32 v135, v30, 0x3f116cb1, v53
	v_fma_f32 v53, 0x3f116cb1, v30, -v53
	v_mul_f32_e32 v80, 0xbf6f5d39, v43
	v_fma_f32 v136, 0x3df6dbef, v29, -v54
	v_dual_fmamk_f32 v137, v30, 0x3df6dbef, v55 :: v_dual_fmac_f32 v54, 0x3df6dbef, v29
	v_mul_f32_e32 v82, 0x3f29c268, v43
	v_mul_f32_e32 v43, 0x3f52af12, v43
	v_add_f32_e32 v35, v0, v18
	v_dual_add_f32 v39, v6, v12 :: v_dual_add_f32 v44, v4, v14
	v_mul_f32_e32 v61, 0xbf52af12, v33
	v_add_f32_e32 v45, v5, v15
	v_dual_add_f32 v48, v25, v23 :: v_dual_mul_f32 v65, 0xbe750f2a, v33
	v_mul_f32_e32 v11, 0xbe750f2a, v11
	v_dual_mul_f32 v33, 0x3eedf032, v33 :: v_dual_mul_f32 v126, 0x3eedf032, v46
	v_mul_f32_e32 v131, 0x3eedf032, v49
	v_fma_f32 v18, 0x3f62ad3f, v29, -v27
	v_fmac_f32_e32 v27, 0x3f62ad3f, v29
	v_fma_f32 v138, 0xbeb58ec6, v29, -v56
	v_dual_fmamk_f32 v139, v30, 0xbeb58ec6, v57 :: v_dual_fmac_f32 v56, 0xbeb58ec6, v29
	v_dual_mul_f32 v74, 0x3f6f5d39, v38 :: v_dual_mul_f32 v75, 0x3f6f5d39, v37
	v_dual_mul_f32 v76, 0x3eedf032, v38 :: v_dual_mul_f32 v77, 0x3eedf032, v37
	v_mul_f32_e32 v37, 0xbf29c268, v37
	v_dual_mul_f32 v112, 0x3eedf032, v41 :: v_dual_mul_f32 v121, 0x3eedf032, v47
	v_mul_f32_e32 v117, 0xbf29c268, v47
	v_dual_mul_f32 v118, 0x3f7e222b, v47 :: v_dual_mul_f32 v123, 0x3f7e222b, v46
	v_dual_mul_f32 v120, 0x3e750f2a, v47 :: v_dual_mul_f32 v125, 0x3e750f2a, v46
	v_mul_f32_e32 v47, 0xbf6f5d39, v47
	v_dual_mul_f32 v122, 0xbf29c268, v46 :: v_dual_mul_f32 v133, 0xbf29c268, v49
	v_dual_mul_f32 v124, 0xbf52af12, v46 :: v_dual_add_f32 v139, v9, v139
	v_fma_f32 v134, 0x3f116cb1, v29, -v52
	v_fmac_f32_e32 v52, 0x3f116cb1, v29
	v_dual_mul_f32 v78, 0xbf52af12, v38 :: v_dual_add_f32 v135, v9, v135
	v_fma_f32 v55, 0x3df6dbef, v30, -v55
	v_mul_f32_e32 v114, 0xbf7e222b, v41
	v_dual_mul_f32 v41, 0x3f52af12, v41 :: v_dual_add_f32 v18, v8, v18
	v_fma_f32 v57, 0xbeb58ec6, v30, -v57
	v_mul_f32_e32 v46, 0xbf6f5d39, v46
	v_fma_f32 v140, 0xbf3f9e67, v29, -v58
	v_dual_fmamk_f32 v141, v30, 0xbf3f9e67, v59 :: v_dual_fmac_f32 v58, 0xbf3f9e67, v29
	v_fma_f32 v59, 0xbf3f9e67, v30, -v59
	v_dual_fmamk_f32 v143, v30, 0xbf788fa5, v10 :: v_dual_fmamk_f32 v180, v45, 0xbf788fa5, v125
	v_fma_f32 v10, 0xbf788fa5, v30, -v10
	v_fmamk_f32 v145, v32, 0xbeb58ec6, v63
	v_fma_f32 v63, 0xbeb58ec6, v32, -v63
	v_fma_f32 v152, 0x3f62ad3f, v31, -v34
	v_fmac_f32_e32 v34, 0x3f62ad3f, v31
	v_dual_mul_f32 v72, 0xbe750f2a, v38 :: v_dual_add_f32 v27, v8, v27
	v_add_f32_e32 v28, v9, v28
	v_dual_mul_f32 v70, 0xbf7e222b, v38 :: v_dual_add_f32 v19, v9, v19
	v_dual_mul_f32 v38, 0xbf29c268, v38 :: v_dual_add_f32 v53, v9, v53
	v_add_f32_e32 v12, v16, v12
	v_dual_add_f32 v51, v26, v24 :: v_dual_mul_f32 v130, 0xbe750f2a, v50
	v_dual_add_f32 v141, v9, v141 :: v_dual_mul_f32 v132, 0x3eedf032, v50
	v_add_f32_e32 v59, v9, v59
	v_fma_f32 v142, 0xbf788fa5, v29, -v11
	v_fmac_f32_e32 v11, 0xbf788fa5, v29
	v_fma_f32 v29, 0x3f116cb1, v31, -v60
	v_dual_fmamk_f32 v30, v32, 0x3f116cb1, v61 :: v_dual_fmamk_f32 v179, v45, 0x3f116cb1, v124
	v_dual_fmac_f32 v60, 0x3f116cb1, v31 :: v_dual_fmamk_f32 v161, v36, 0x3f116cb1, v79
	v_fma_f32 v61, 0x3f116cb1, v32, -v61
	v_fma_f32 v146, 0xbf788fa5, v31, -v64
	;; [unrolled: 1-line block ×4, first 2 shown]
	v_dual_fmac_f32 v43, 0x3f116cb1, v39 :: v_dual_add_f32 v136, v8, v136
	v_dual_fmamk_f32 v168, v40, 0xbf3f9e67, v83 :: v_dual_add_f32 v13, v17, v13
	v_dual_fmamk_f32 v181, v45, 0x3f62ad3f, v126 :: v_dual_add_f32 v138, v8, v138
	v_fma_f32 v144, 0xbeb58ec6, v31, -v62
	v_fmac_f32_e32 v62, 0xbeb58ec6, v31
	v_dual_fmamk_f32 v147, v32, 0xbf788fa5, v65 :: v_dual_fmac_f32 v64, 0xbf788fa5, v31
	v_fma_f32 v65, 0xbf788fa5, v32, -v65
	v_dual_fmamk_f32 v149, v32, 0xbf3f9e67, v67 :: v_dual_fmac_f32 v66, 0xbf3f9e67, v31
	v_fma_f32 v67, 0xbf3f9e67, v32, -v67
	v_fma_f32 v150, 0x3df6dbef, v31, -v68
	v_dual_fmamk_f32 v151, v32, 0x3df6dbef, v69 :: v_dual_fmac_f32 v68, 0x3df6dbef, v31
	v_fma_f32 v69, 0x3df6dbef, v32, -v69
	v_fmamk_f32 v153, v32, 0x3f62ad3f, v33
	v_fma_f32 v31, 0x3f62ad3f, v32, -v33
	v_fma_f32 v32, 0x3df6dbef, v35, -v70
	v_dual_fmamk_f32 v33, v36, 0x3df6dbef, v71 :: v_dual_fmac_f32 v70, 0x3df6dbef, v35
	v_fma_f32 v71, 0x3df6dbef, v36, -v71
	v_fma_f32 v154, 0xbf788fa5, v35, -v72
	v_dual_fmamk_f32 v155, v36, 0xbf788fa5, v73 :: v_dual_fmac_f32 v72, 0xbf788fa5, v35
	;; [unrolled: 3-line block ×3, first 2 shown]
	v_fma_f32 v75, 0xbeb58ec6, v36, -v75
	v_fma_f32 v158, 0x3f62ad3f, v35, -v76
	v_dual_fmamk_f32 v159, v36, 0x3f62ad3f, v77 :: v_dual_add_f32 v16, v9, v143
	v_fmac_f32_e32 v76, 0x3f62ad3f, v35
	v_fma_f32 v77, 0x3f62ad3f, v36, -v77
	v_fma_f32 v160, 0x3f116cb1, v35, -v78
	v_fmac_f32_e32 v78, 0x3f116cb1, v35
	v_fma_f32 v79, 0x3f116cb1, v36, -v79
	v_fma_f32 v162, 0xbf3f9e67, v35, -v38
	v_dual_fmamk_f32 v163, v36, 0xbf3f9e67, v37 :: v_dual_fmac_f32 v38, 0xbf3f9e67, v35
	v_fma_f32 v35, 0xbf3f9e67, v36, -v37
	v_fma_f32 v36, 0xbeb58ec6, v39, -v80
	v_fmac_f32_e32 v80, 0xbeb58ec6, v39
	v_fma_f32 v164, 0x3f62ad3f, v39, -v111
	v_dual_fmac_f32 v111, 0x3f62ad3f, v39 :: v_dual_add_f32 v134, v8, v134
	v_fma_f32 v165, 0x3df6dbef, v39, -v113
	v_fma_f32 v166, 0xbf788fa5, v39, -v115
	v_dual_fmac_f32 v115, 0xbf788fa5, v39 :: v_dual_add_f32 v52, v8, v52
	v_fma_f32 v83, 0xbf3f9e67, v40, -v83
	v_fmamk_f32 v169, v40, 0x3f62ad3f, v112
	v_fma_f32 v112, 0x3f62ad3f, v40, -v112
	v_fmamk_f32 v171, v40, 0xbf788fa5, v116
	;; [unrolled: 2-line block ×3, first 2 shown]
	v_fma_f32 v173, 0x3df6dbef, v44, -v118
	v_fmac_f32_e32 v118, 0x3df6dbef, v44
	v_fma_f32 v174, 0x3f116cb1, v44, -v119
	v_fmac_f32_e32 v119, 0x3f116cb1, v44
	v_fma_f32 v175, 0xbf788fa5, v44, -v120
	v_fmac_f32_e32 v120, 0xbf788fa5, v44
	v_fma_f32 v176, 0x3f62ad3f, v44, -v121
	v_dual_fmac_f32 v121, 0x3f62ad3f, v44 :: v_dual_add_f32 v54, v8, v54
	v_fma_f32 v177, 0xbeb58ec6, v44, -v47
	v_dual_fmamk_f32 v178, v45, 0x3df6dbef, v123 :: v_dual_add_f32 v17, v144, v134
	v_fma_f32 v123, 0x3df6dbef, v45, -v123
	v_fma_f32 v124, 0x3f116cb1, v45, -v124
	;; [unrolled: 1-line block ×4, first 2 shown]
	v_add_f32_e32 v137, v9, v137
	v_fma_f32 v37, 0xbf3f9e67, v39, -v82
	v_fmac_f32_e32 v82, 0xbf3f9e67, v39
	v_add_f32_e32 v55, v9, v55
	v_dual_fmac_f32 v113, 0x3df6dbef, v39 :: v_dual_fmamk_f32 v170, v40, 0x3df6dbef, v114
	v_fmamk_f32 v39, v40, 0xbeb58ec6, v81
	v_fma_f32 v81, 0xbeb58ec6, v40, -v81
	v_fma_f32 v114, 0x3df6dbef, v40, -v114
	;; [unrolled: 1-line block ×4, first 2 shown]
	v_fmac_f32_e32 v117, 0xbf3f9e67, v44
	v_add_f32_e32 v57, v9, v57
	v_dual_fmac_f32 v47, 0xbeb58ec6, v44 :: v_dual_fmamk_f32 v182, v45, 0xbeb58ec6, v46
	v_fmamk_f32 v44, v45, 0xbf3f9e67, v122
	v_fma_f32 v122, 0xbf3f9e67, v45, -v122
	v_fma_f32 v45, 0xbeb58ec6, v45, -v46
	;; [unrolled: 1-line block ×3, first 2 shown]
	v_dual_fmac_f32 v129, 0xbf788fa5, v48 :: v_dual_add_f32 v58, v8, v58
	v_add_f32_e32 v9, v9, v10
	v_dual_add_f32 v10, v12, v14 :: v_dual_fmamk_f32 v183, v51, 0xbf788fa5, v130
	v_add_f32_e32 v56, v8, v56
	v_fma_f32 v184, 0x3f62ad3f, v48, -v131
	v_dual_fmamk_f32 v185, v51, 0x3f62ad3f, v132 :: v_dual_add_f32 v140, v8, v140
	v_dual_fmac_f32 v131, 0x3f62ad3f, v48 :: v_dual_add_f32 v142, v8, v142
	v_add_f32_e32 v8, v8, v11
	v_add_f32_e32 v11, v13, v15
	;; [unrolled: 1-line block ×4, first 2 shown]
	v_dual_add_f32 v14, v60, v27 :: v_dual_add_f32 v29, v147, v137
	v_dual_add_f32 v27, v63, v53 :: v_dual_add_f32 v28, v146, v136
	v_add_f32_e32 v53, v148, v138
	v_add_f32_e32 v13, v30, v19
	v_dual_add_f32 v18, v145, v135 :: v_dual_add_f32 v19, v62, v52
	v_dual_add_f32 v58, v68, v58 :: v_dual_add_f32 v9, v31, v9
	v_add_f32_e32 v10, v10, v23
	v_dual_add_f32 v16, v153, v16 :: v_dual_add_f32 v15, v71, v15
	v_dual_add_f32 v8, v34, v8 :: v_dual_add_f32 v13, v33, v13
	;; [unrolled: 1-line block ×4, first 2 shown]
	v_add_f32_e32 v30, v64, v54
	v_add_f32_e32 v52, v65, v55
	v_dual_add_f32 v54, v149, v139 :: v_dual_add_f32 v61, v152, v142
	v_dual_add_f32 v55, v66, v56 :: v_dual_add_f32 v56, v67, v57
	v_dual_add_f32 v59, v69, v59 :: v_dual_add_f32 v14, v70, v14
	v_dual_add_f32 v27, v73, v27 :: v_dual_add_f32 v18, v155, v18
	v_add_f32_e32 v29, v157, v29
	v_add_f32_e32 v9, v35, v9
	s_delay_alu instid0(VALU_DEP_3)
	v_dual_add_f32 v10, v10, v25 :: v_dual_add_f32 v25, v83, v27
	v_dual_add_f32 v16, v163, v16 :: v_dual_add_f32 v15, v81, v15
	;; [unrolled: 1-line block ×4, first 2 shown]
	v_add_f32_e32 v19, v72, v19
	v_dual_add_f32 v28, v156, v28 :: v_dual_add_f32 v33, v159, v54
	v_dual_add_f32 v30, v74, v30 :: v_dual_add_f32 v31, v75, v52
	s_delay_alu instid0(VALU_DEP_4)
	v_dual_add_f32 v34, v76, v55 :: v_dual_add_f32 v23, v161, v60
	v_dual_add_f32 v24, v78, v58 :: v_dual_add_f32 v13, v39, v13
	;; [unrolled: 1-line block ×5, first 2 shown]
	v_add_f32_e32 v4, v10, v4
	v_dual_add_f32 v16, v172, v16 :: v_dual_add_f32 v5, v11, v5
	v_dual_add_f32 v52, v77, v56 :: v_dual_add_f32 v53, v160, v57
	;; [unrolled: 1-line block ×3, first 2 shown]
	v_add_f32_e32 v26, v164, v28
	v_dual_add_f32 v28, v111, v30 :: v_dual_add_f32 v29, v112, v31
	v_dual_add_f32 v31, v170, v33 :: v_dual_add_f32 v36, v167, v55
	;; [unrolled: 1-line block ×6, first 2 shown]
	v_add_f32_e32 v5, v5, v7
	v_fma_f32 v130, 0xbf788fa5, v51, -v130
	v_fma_f32 v132, 0x3f62ad3f, v51, -v132
	v_dual_add_f32 v30, v165, v32 :: v_dual_add_f32 v23, v171, v23
	v_dual_add_f32 v32, v113, v34 :: v_dual_add_f32 v33, v114, v52
	;; [unrolled: 1-line block ×3, first 2 shown]
	v_add_f32_e32 v12, v117, v14
	v_dual_add_f32 v14, v173, v17 :: v_dual_add_f32 v17, v118, v19
	v_dual_add_f32 v19, v174, v26 :: v_dual_add_f32 v4, v4, v0
	;; [unrolled: 1-line block ×5, first 2 shown]
	v_add_f32_e32 v29, v180, v31
	v_dual_add_f32 v31, v125, v33 :: v_dual_add_f32 v30, v120, v32
	v_dual_add_f32 v23, v181, v23 :: v_dual_add_f32 v32, v176, v34
	;; [unrolled: 1-line block ×3, first 2 shown]
	v_add_f32_e32 v41, v130, v13
	v_dual_add_f32 v35, v182, v16 :: v_dual_add_f32 v4, v4, v2
	v_dual_add_f32 v36, v47, v8 :: v_dual_add_f32 v37, v45, v9
	v_add_f32_e32 v2, v184, v14
	v_fma_f32 v8, 0xbf3f9e67, v48, -v133
	v_dual_add_f32 v6, v131, v17 :: v_dual_add_f32 v7, v132, v18
	v_dual_mul_f32 v14, 0x3f52af12, v49 :: v_dual_mul_f32 v13, 0x3f52af12, v50
	v_dual_mul_f32 v18, 0xbf6f5d39, v49 :: v_dual_mul_f32 v17, 0xbf6f5d39, v50
	v_dual_add_f32 v0, v46, v10 :: v_dual_add_f32 v5, v5, v3
	v_dual_add_f32 v40, v129, v12 :: v_dual_mul_f32 v9, 0xbf29c268, v50
	v_dual_add_f32 v3, v185, v15 :: v_dual_add_f32 v4, v4, v20
	s_delay_alu instid0(VALU_DEP_3)
	v_dual_add_f32 v5, v5, v21 :: v_dual_add_f32 v8, v8, v19
	v_fmac_f32_e32 v133, 0xbf3f9e67, v48
	v_fmamk_f32 v15, v51, 0x3f116cb1, v13
	v_fma_f32 v16, 0x3f116cb1, v51, -v13
	v_fma_f32 v19, 0xbeb58ec6, v48, -v18
	v_fmamk_f32 v20, v51, 0xbeb58ec6, v17
	v_dual_add_f32 v24, v121, v24 :: v_dual_add_f32 v1, v183, v11
	v_fma_f32 v11, 0xbf3f9e67, v51, -v9
	v_mul_lo_u16 v21, v42, 13
	v_fmamk_f32 v10, v51, 0xbf3f9e67, v9
	v_fma_f32 v12, 0x3f116cb1, v48, -v14
	v_dual_fmac_f32 v14, 0x3f116cb1, v48 :: v_dual_add_f32 v13, v15, v29
	v_dual_add_f32 v15, v16, v31 :: v_dual_add_f32 v16, v19, v32
	v_fma_f32 v19, 0xbeb58ec6, v51, -v17
	v_dual_add_f32 v17, v20, v23 :: v_dual_fmac_f32 v18, 0xbeb58ec6, v48
	v_dual_mul_f32 v23, 0x3f7e222b, v49 :: v_dual_mul_f32 v20, 0x3f7e222b, v50
	v_dual_add_f32 v11, v11, v27 :: v_dual_add_f32 v12, v12, v28
	v_and_b32_e32 v27, 0xffff, v21
	v_dual_add_f32 v9, v10, v25 :: v_dual_add_f32 v10, v133, v26
	v_dual_add_f32 v19, v19, v33 :: v_dual_add_f32 v18, v18, v24
	v_fmamk_f32 v25, v51, 0x3df6dbef, v20
	v_fma_f32 v24, 0x3df6dbef, v48, -v23
	v_fmac_f32_e32 v23, 0x3df6dbef, v48
	v_fma_f32 v26, 0x3df6dbef, v51, -v20
	v_lshlrev_b32_e32 v68, 3, v27
	s_delay_alu instid0(VALU_DEP_4) | instskip(NEXT) | instid1(VALU_DEP_3)
	v_dual_add_f32 v21, v25, v35 :: v_dual_add_f32 v20, v24, v34
	v_dual_add_f32 v23, v23, v36 :: v_dual_add_f32 v24, v26, v37
	v_add_f32_e32 v14, v14, v30
	ds_store_2addr_b64 v68, v[4:5], v[0:1] offset1:1
	ds_store_2addr_b64 v68, v[2:3], v[8:9] offset0:2 offset1:3
	ds_store_2addr_b64 v68, v[12:13], v[16:17] offset0:4 offset1:5
	;; [unrolled: 1-line block ×5, first 2 shown]
	ds_store_b64 v68, v[40:41] offset:96
	v_add_nc_u32_e32 v0, 0x1e00, v127
	v_add_nc_u32_e32 v1, 0x2800, v127
	;; [unrolled: 1-line block ×4, first 2 shown]
	global_wb scope:SCOPE_SE
	s_wait_dscnt 0x0
	s_barrier_signal -1
	s_barrier_wait -1
	global_inv scope:SCOPE_SE
	ds_load_2addr_b64 v[8:11], v127 offset1:156
	ds_load_2addr_b64 v[20:23], v22 offset0:56 offset1:251
	ds_load_2addr_b64 v[36:39], v0 offset0:54 offset1:210
	;; [unrolled: 1-line block ×5, first 2 shown]
                                        ; implicit-def: $vgpr42
                                        ; implicit-def: $vgpr44
                                        ; implicit-def: $vgpr46
	s_and_saveexec_b32 s0, vcc_lo
	s_cbranch_execz .LBB0_3
; %bb.2:
	ds_load_b64 v[40:41], v127 offset:3744
	ds_load_b64 v[46:47], v127 offset:7800
	;; [unrolled: 1-line block ×4, first 2 shown]
.LBB0_3:
	s_wait_alu 0xfffe
	s_or_b32 exec_lo, exec_lo, s0
	v_and_b32_e32 v0, 0xff, v128
	v_add_co_u32 v69, null, 0x9c, v128
	v_add_co_u32 v70, null, 0x138, v128
	s_delay_alu instid0(VALU_DEP_3) | instskip(NEXT) | instid1(VALU_DEP_3)
	v_mul_lo_u16 v0, 0x4f, v0
	v_and_b32_e32 v1, 0xffff, v69
	v_add_nc_u16 v71, v128, 0x1d4
	s_delay_alu instid0(VALU_DEP_3) | instskip(SKIP_1) | instid1(VALU_DEP_4)
	v_lshrrev_b16 v50, 10, v0
	v_and_b32_e32 v0, 0xffff, v70
	v_mul_u32_u24_e32 v72, 0x4ec5, v1
	s_delay_alu instid0(VALU_DEP_4) | instskip(NEXT) | instid1(VALU_DEP_4)
	v_and_b32_e32 v1, 0xffff, v71
	v_mul_lo_u16 v2, v50, 13
	s_delay_alu instid0(VALU_DEP_4) | instskip(NEXT) | instid1(VALU_DEP_4)
	v_mul_u32_u24_e32 v74, 0x4ec5, v0
	v_lshrrev_b32_e32 v51, 18, v72
	s_delay_alu instid0(VALU_DEP_4) | instskip(NEXT) | instid1(VALU_DEP_4)
	v_mul_u32_u24_e32 v73, 0x4ec5, v1
	v_sub_nc_u16 v0, v128, v2
	s_delay_alu instid0(VALU_DEP_4) | instskip(NEXT) | instid1(VALU_DEP_4)
	v_lshrrev_b32_e32 v52, 18, v74
	v_mul_lo_u16 v1, v51, 13
	s_delay_alu instid0(VALU_DEP_4) | instskip(NEXT) | instid1(VALU_DEP_4)
	v_lshrrev_b32_e32 v129, 18, v73
	v_and_b32_e32 v53, 0xff, v0
	s_delay_alu instid0(VALU_DEP_4) | instskip(NEXT) | instid1(VALU_DEP_4)
	v_mul_lo_u16 v2, v52, 13
	v_sub_nc_u16 v54, v69, v1
	s_delay_alu instid0(VALU_DEP_4) | instskip(NEXT) | instid1(VALU_DEP_4)
	v_mul_lo_u16 v3, v129, 13
	v_mad_co_u64_u32 v[0:1], null, v53, 24, s[10:11]
	s_delay_alu instid0(VALU_DEP_4) | instskip(NEXT) | instid1(VALU_DEP_3)
	v_sub_nc_u16 v55, v70, v2
	v_sub_nc_u16 v130, v71, v3
	v_mul_lo_u16 v2, v54, 24
	s_clause 0x1
	global_load_b64 v[117:118], v[0:1], off offset:16
	global_load_b128 v[16:19], v[0:1], off
	v_mul_lo_u16 v3, v55, 24
	v_mul_lo_u16 v4, v130, 24
	v_and_b32_e32 v2, 0xffff, v2
	s_delay_alu instid0(VALU_DEP_3) | instskip(NEXT) | instid1(VALU_DEP_3)
	v_and_b32_e32 v3, 0xffff, v3
	v_and_b32_e32 v48, 0xffff, v4
	s_delay_alu instid0(VALU_DEP_3)
	v_add_co_u32 v0, s0, s10, v2
	s_wait_alu 0xf1ff
	v_add_co_ci_u32_e64 v1, null, s11, 0, s0
	v_add_co_u32 v2, s0, s10, v3
	s_wait_alu 0xf1ff
	v_add_co_ci_u32_e64 v3, null, s11, 0, s0
	;; [unrolled: 3-line block ×3, first 2 shown]
	s_clause 0x5
	global_load_b128 v[12:15], v[0:1], off
	global_load_b64 v[115:116], v[0:1], off offset:16
	global_load_b128 v[4:7], v[2:3], off
	global_load_b64 v[113:114], v[2:3], off offset:16
	;; [unrolled: 2-line block ×3, first 2 shown]
	v_and_b32_e32 v48, 0xffff, v50
	v_mad_u16 v49, v51, 52, v54
	v_mad_u16 v50, v52, 52, v55
	global_wb scope:SCOPE_SE
	s_wait_loadcnt_dscnt 0x0
	s_barrier_signal -1
	v_mul_u32_u24_e32 v48, 52, v48
	v_and_b32_e32 v49, 0xffff, v49
	v_and_b32_e32 v50, 0xffff, v50
	s_barrier_wait -1
	global_inv scope:SCOPE_SE
	v_mul_f32_e32 v52, v27, v118
	v_add_lshl_u32 v133, v48, v53, 3
	v_dual_mul_f32 v53, v26, v118 :: v_dual_mul_f32 v48, v23, v17
	v_dual_mul_f32 v51, v36, v19 :: v_dual_lshlrev_b32 v132, 3, v49
	v_mul_f32_e32 v49, v22, v17
	s_delay_alu instid0(VALU_DEP_3) | instskip(NEXT) | instid1(VALU_DEP_4)
	v_fmac_f32_e32 v53, v27, v117
	v_fma_f32 v22, v22, v16, -v48
	s_delay_alu instid0(VALU_DEP_4)
	v_fmac_f32_e32 v51, v37, v18
	v_fma_f32 v26, v26, v117, -v52
	v_fmac_f32_e32 v49, v23, v16
	v_mul_f32_e32 v27, v33, v13
	v_dual_mul_f32 v50, v37, v19 :: v_dual_lshlrev_b32 v131, 3, v50
	v_dual_mul_f32 v37, v39, v15 :: v_dual_mul_f32 v52, v28, v116
	v_mul_f32_e32 v48, v38, v15
	v_dual_mul_f32 v54, v35, v5 :: v_dual_mul_f32 v57, v24, v7
	s_delay_alu instid0(VALU_DEP_4)
	v_fma_f32 v23, v36, v18, -v50
	v_mul_f32_e32 v36, v32, v13
	v_dual_mul_f32 v50, v29, v116 :: v_dual_mul_f32 v55, v34, v5
	v_mul_f32_e32 v56, v25, v7
	v_dual_mul_f32 v58, v31, v114 :: v_dual_mul_f32 v61, v46, v1
	v_dual_mul_f32 v59, v30, v114 :: v_dual_mul_f32 v60, v47, v1
	;; [unrolled: 1-line block ×4, first 2 shown]
	v_dual_sub_f32 v66, v8, v23 :: v_dual_sub_f32 v23, v22, v26
	v_dual_sub_f32 v51, v9, v51 :: v_dual_fmac_f32 v48, v39, v14
	v_dual_sub_f32 v26, v49, v53 :: v_dual_fmac_f32 v55, v35, v4
	v_fma_f32 v27, v32, v12, -v27
	v_dual_fmac_f32 v36, v33, v12 :: v_dual_fmac_f32 v59, v31, v113
	v_fma_f32 v32, v38, v14, -v37
	v_fma_f32 v28, v28, v115, -v50
	v_dual_fmac_f32 v52, v29, v115 :: v_dual_fmac_f32 v61, v47, v0
	v_fma_f32 v29, v34, v4, -v54
	v_fma_f32 v24, v24, v6, -v56
	v_dual_fmac_f32 v57, v25, v6 :: v_dual_sub_f32 v32, v10, v32
	v_fma_f32 v25, v30, v113, -v58
	v_fma_f32 v30, v46, v0, -v60
	;; [unrolled: 1-line block ×3, first 2 shown]
	v_dual_fmac_f32 v63, v45, v2 :: v_dual_sub_f32 v38, v11, v48
	v_fma_f32 v33, v42, v111, -v64
	v_fmac_f32_e32 v65, v43, v111
	v_fma_f32 v34, v8, 2.0, -v66
	v_sub_f32_e32 v8, v66, v26
	v_fma_f32 v35, v9, 2.0, -v51
	v_fma_f32 v22, v22, 2.0, -v23
	;; [unrolled: 1-line block ×3, first 2 shown]
	v_add_f32_e32 v9, v51, v23
	v_dual_sub_f32 v26, v27, v28 :: v_dual_sub_f32 v43, v29, v25
	v_sub_f32_e32 v28, v36, v52
	v_dual_sub_f32 v39, v20, v24 :: v_dual_sub_f32 v42, v21, v57
	v_sub_f32_e32 v44, v55, v59
	v_dual_sub_f32 v45, v40, v31 :: v_dual_sub_f32 v22, v34, v22
	v_dual_sub_f32 v46, v41, v63 :: v_dual_sub_f32 v23, v35, v37
	v_sub_f32_e32 v31, v30, v33
	v_sub_f32_e32 v33, v61, v65
	v_fma_f32 v37, v10, 2.0, -v32
	v_sub_f32_e32 v10, v32, v28
	v_fma_f32 v47, v11, 2.0, -v38
	v_fma_f32 v48, v27, 2.0, -v26
	;; [unrolled: 1-line block ×3, first 2 shown]
	v_add_f32_e32 v11, v38, v26
	v_fma_f32 v49, v20, 2.0, -v39
	v_sub_f32_e32 v20, v39, v44
	v_fma_f32 v50, v21, 2.0, -v42
	v_fma_f32 v28, v29, 2.0, -v43
	;; [unrolled: 1-line block ×3, first 2 shown]
	v_add_f32_e32 v21, v42, v43
	v_fma_f32 v40, v40, 2.0, -v45
	v_fma_f32 v41, v41, 2.0, -v46
	;; [unrolled: 1-line block ×5, first 2 shown]
	v_dual_sub_f32 v119, v45, v33 :: v_dual_add_f32 v120, v46, v31
	ds_store_2addr_b64 v133, v[22:23], v[8:9] offset0:26 offset1:39
	v_dual_sub_f32 v9, v47, v36 :: v_dual_sub_f32 v62, v40, v43
	v_sub_f32_e32 v63, v41, v44
	v_fma_f32 v24, v66, 2.0, -v8
	v_fma_f32 v26, v34, 2.0, -v22
	;; [unrolled: 1-line block ×3, first 2 shown]
	v_sub_f32_e32 v8, v37, v48
	v_dual_sub_f32 v28, v49, v28 :: v_dual_sub_f32 v29, v50, v29
	v_fma_f32 v66, v45, 2.0, -v119
	v_fma_f32 v67, v46, 2.0, -v120
	;; [unrolled: 1-line block ×6, first 2 shown]
	ds_store_2addr_b64 v133, v[26:27], v[24:25] offset1:13
	v_fma_f32 v24, v37, 2.0, -v8
	v_fma_f32 v25, v47, 2.0, -v9
	;; [unrolled: 1-line block ×6, first 2 shown]
	ds_store_2addr_b64 v132, v[8:9], v[10:11] offset0:26 offset1:39
	ds_store_2addr_b64 v132, v[24:25], v[22:23] offset1:13
	ds_store_2addr_b64 v131, v[26:27], v[30:31] offset1:13
	ds_store_2addr_b64 v131, v[28:29], v[20:21] offset0:26 offset1:39
	s_and_saveexec_b32 s0, vcc_lo
	s_cbranch_execz .LBB0_5
; %bb.4:
	v_mad_u16 v8, v129, 52, v130
	s_delay_alu instid0(VALU_DEP_1) | instskip(NEXT) | instid1(VALU_DEP_1)
	v_and_b32_e32 v8, 0xffff, v8
	v_lshlrev_b32_e32 v8, 3, v8
	ds_store_2addr_b64 v8, v[60:61], v[66:67] offset1:13
	ds_store_2addr_b64 v8, v[62:63], v[119:120] offset0:26 offset1:39
.LBB0_5:
	s_wait_alu 0xfffe
	s_or_b32 exec_lo, exec_lo, s0
	v_add_nc_u32_e32 v8, 0x1400, v127
	v_add_nc_u32_e32 v9, 0x2800, v127
	;; [unrolled: 1-line block ×5, first 2 shown]
	global_wb scope:SCOPE_SE
	s_wait_dscnt 0x0
	s_barrier_signal -1
	s_barrier_wait -1
	global_inv scope:SCOPE_SE
	ds_load_2addr_b64 v[28:31], v127 offset1:156
	ds_load_2addr_b64 v[48:51], v8 offset0:36 offset1:192
	ds_load_2addr_b64 v[44:47], v9 offset0:72 offset1:228
	;; [unrolled: 1-line block ×4, first 2 shown]
	ds_load_2addr_b64 v[52:55], v20 offset1:156
	v_add_co_u32 v64, s0, s8, v127
	s_wait_alu 0xf1ff
	v_add_co_ci_u32_e64 v65, null, s9, 0, s0
	v_cmp_gt_u16_e64 s0, 52, v128
	s_delay_alu instid0(VALU_DEP_1)
	s_and_saveexec_b32 s1, s0
	s_cbranch_execz .LBB0_7
; %bb.6:
	ds_load_b64 v[60:61], v127 offset:4992
	ds_load_b64 v[66:67], v127 offset:10400
	;; [unrolled: 1-line block ×3, first 2 shown]
.LBB0_7:
	s_wait_alu 0xfffe
	s_or_b32 exec_lo, exec_lo, s1
	v_and_b32_e32 v8, 0xff, v128
	v_lshrrev_b32_e32 v74, 20, v74
	v_lshrrev_b32_e32 v73, 20, v73
	;; [unrolled: 1-line block ×3, first 2 shown]
	s_delay_alu instid0(VALU_DEP_4) | instskip(NEXT) | instid1(VALU_DEP_4)
	v_mul_lo_u16 v8, 0x4f, v8
	v_mul_lo_u16 v9, v74, 52
	s_delay_alu instid0(VALU_DEP_4) | instskip(NEXT) | instid1(VALU_DEP_3)
	v_mul_lo_u16 v10, v73, 52
	v_lshrrev_b16 v75, 12, v8
	s_delay_alu instid0(VALU_DEP_3) | instskip(SKIP_1) | instid1(VALU_DEP_4)
	v_sub_nc_u16 v70, v70, v9
	v_mul_lo_u16 v8, v72, 52
	v_sub_nc_u16 v71, v71, v10
	s_delay_alu instid0(VALU_DEP_4) | instskip(NEXT) | instid1(VALU_DEP_4)
	v_mul_lo_u16 v9, v75, 52
	v_lshlrev_b16 v10, 4, v70
	s_delay_alu instid0(VALU_DEP_4) | instskip(NEXT) | instid1(VALU_DEP_4)
	v_sub_nc_u16 v69, v69, v8
	v_lshlrev_b16 v8, 4, v71
	v_mad_u16 v70, 0x9c, v74, v70
	v_sub_nc_u16 v9, v128, v9
	v_and_b32_e32 v10, 0xffff, v10
	v_lshlrev_b16 v20, 4, v69
	v_and_b32_e32 v11, 0xffff, v8
	v_mad_u16 v71, 0x9c, v73, v71
	v_and_b32_e32 v77, 0xff, v9
	v_add_co_u32 v8, s1, s10, v10
	s_wait_alu 0xf1ff
	v_add_co_ci_u32_e64 v9, null, s11, 0, s1
	s_delay_alu instid0(VALU_DEP_3)
	v_lshlrev_b32_e32 v38, 4, v77
	v_and_b32_e32 v37, 0xffff, v20
	v_mad_u16 v69, 0x9c, v72, v69
	global_load_b128 v[24:27], v[8:9], off offset:312
	v_and_b32_e32 v72, 0xffff, v75
	global_load_b128 v[40:43], v38, s[10:11] offset:312
	v_and_b32_e32 v70, 0xffff, v70
	v_add_nc_u32_e32 v76, 0x270, v128
	v_and_b32_e32 v71, 0xffff, v71
	s_wait_loadcnt_dscnt 0x3
	v_dual_mul_f32 v80, v45, v43 :: v_dual_and_b32 v69, 0xffff, v69
	v_mul_f32_e32 v81, v44, v43
	s_wait_dscnt 0x1
	v_dual_mul_f32 v70, v56, v25 :: v_dual_lshlrev_b32 v135, 3, v70
	v_add_co_u32 v10, s1, s10, v11
	s_wait_alu 0xf1ff
	v_add_co_ci_u32_e64 v11, null, s11, 0, s1
	v_mul_f32_e32 v78, v49, v41
	v_fmac_f32_e32 v81, v45, v42
	v_mul_f32_e32 v79, v48, v41
	global_load_b128 v[20:23], v[10:11], off offset:312
	v_lshlrev_b32_e32 v134, 3, v71
	s_wait_dscnt 0x0
	v_dual_mul_f32 v71, v53, v27 :: v_dual_and_b32 v36, 0xffff, v76
	v_fma_f32 v48, v48, v40, -v78
	v_fmac_f32_e32 v79, v49, v40
	s_wait_loadcnt 0x0
	s_delay_alu instid0(VALU_DEP_2)
	v_dual_add_f32 v78, v28, v48 :: v_dual_mul_f32 v75, v55, v23
	v_mul_u32_u24_e32 v10, 0x4ec5, v36
	v_mul_f32_e32 v74, v58, v21
	v_add_co_u32 v8, s1, s10, v37
	s_wait_alu 0xf1ff
	v_add_co_ci_u32_e64 v9, null, s11, 0, s1
	v_lshrrev_b32_e32 v10, 20, v10
	v_mul_f32_e32 v73, v59, v21
	v_fmac_f32_e32 v74, v59, v20
	global_load_b128 v[36:39], v[8:9], off offset:312
	v_lshlrev_b32_e32 v136, 3, v69
	v_mul_lo_u16 v8, v10, 52
	v_mul_f32_e32 v69, v57, v25
	v_fmac_f32_e32 v70, v57, v24
	s_delay_alu instid0(VALU_DEP_3) | instskip(NEXT) | instid1(VALU_DEP_3)
	v_sub_nc_u16 v76, v76, v8
	v_fma_f32 v56, v56, v24, -v69
	s_delay_alu instid0(VALU_DEP_2) | instskip(NEXT) | instid1(VALU_DEP_1)
	v_lshlrev_b16 v8, 4, v76
	v_and_b32_e32 v8, 0xffff, v8
	s_delay_alu instid0(VALU_DEP_1)
	v_add_co_u32 v8, s1, s10, v8
	s_wait_alu 0xf1ff
	v_add_co_ci_u32_e64 v9, null, s11, 0, s1
	global_load_b128 v[8:11], v[8:9], off offset:312
	global_wb scope:SCOPE_SE
	s_wait_loadcnt 0x0
	s_barrier_signal -1
	s_barrier_wait -1
	global_inv scope:SCOPE_SE
	v_mul_f32_e32 v83, v50, v37
	v_mul_u32_u24_e32 v72, 0x9c, v72
	v_mul_f32_e32 v122, v46, v39
	v_mul_f32_e32 v82, v51, v37
	;; [unrolled: 1-line block ×3, first 2 shown]
	v_fmac_f32_e32 v83, v51, v36
	v_add_lshl_u32 v137, v72, v77, 3
	v_mul_f32_e32 v72, v52, v27
	v_mul_f32_e32 v77, v54, v23
	v_fma_f32 v52, v52, v26, -v71
	v_fma_f32 v54, v54, v22, -v75
	v_fmac_f32_e32 v122, v47, v38
	v_fmac_f32_e32 v72, v53, v26
	v_fma_f32 v53, v58, v20, -v73
	v_fmac_f32_e32 v77, v55, v22
	v_fma_f32 v55, v44, v42, -v80
	v_fma_f32 v49, v50, v36, -v82
	;; [unrolled: 1-line block ×3, first 2 shown]
	v_dual_add_f32 v46, v32, v56 :: v_dual_add_f32 v69, v53, v54
	v_add_f32_e32 v47, v56, v52
	v_add_f32_e32 v71, v35, v74
	v_dual_add_f32 v50, v33, v70 :: v_dual_add_f32 v51, v70, v72
	v_dual_add_f32 v73, v74, v77 :: v_dual_sub_f32 v126, v83, v122
	v_dual_sub_f32 v139, v49, v57 :: v_dual_add_f32 v138, v31, v83
	v_dual_add_f32 v83, v83, v122 :: v_dual_add_f32 v46, v46, v52
	v_mul_f32_e32 v45, v66, v9
	v_mul_f32_e32 v44, v62, v11
	v_sub_f32_e32 v58, v70, v72
	v_dual_sub_f32 v59, v56, v52 :: v_dual_add_f32 v56, v34, v53
	v_dual_sub_f32 v70, v74, v77 :: v_dual_mul_f32 v75, v63, v11
	v_dual_sub_f32 v74, v53, v54 :: v_dual_mul_f32 v53, v67, v9
	v_dual_add_f32 v80, v48, v55 :: v_dual_add_f32 v125, v49, v57
	v_dual_sub_f32 v82, v79, v81 :: v_dual_add_f32 v121, v29, v79
	v_add_f32_e32 v79, v79, v81
	v_dual_sub_f32 v123, v48, v55 :: v_dual_add_f32 v124, v30, v49
	v_fma_f32 v48, -0.5, v47, v32
	v_fma_f32 v49, -0.5, v51, v33
	;; [unrolled: 1-line block ×3, first 2 shown]
	v_dual_fmac_f32 v35, -0.5, v73 :: v_dual_fmac_f32 v44, v63, v10
	v_dual_fmac_f32 v45, v67, v8 :: v_dual_add_f32 v52, v78, v55
	v_fmac_f32_e32 v31, -0.5, v83
	v_dual_add_f32 v47, v50, v72 :: v_dual_add_f32 v50, v56, v54
	v_add_f32_e32 v51, v71, v77
	v_fma_f32 v33, v66, v8, -v53
	v_fma_f32 v32, v62, v10, -v75
	v_dual_add_f32 v53, v121, v81 :: v_dual_fmamk_f32 v56, v58, 0x3f5db3d7, v48
	v_dual_add_f32 v54, v124, v57 :: v_dual_add_f32 v55, v138, v122
	v_dual_fmac_f32 v48, 0xbf5db3d7, v58 :: v_dual_fmamk_f32 v57, v59, 0xbf5db3d7, v49
	v_dual_fmac_f32 v49, 0x3f5db3d7, v59 :: v_dual_fmamk_f32 v58, v70, 0x3f5db3d7, v34
	;; [unrolled: 1-line block ×3, first 2 shown]
	v_dual_add_f32 v70, v45, v44 :: v_dual_fmac_f32 v31, 0x3f5db3d7, v139
	v_sub_f32_e32 v72, v33, v32
	v_fma_f32 v28, -0.5, v80, v28
	v_fma_f32 v29, -0.5, v79, v29
	s_delay_alu instid0(VALU_DEP_4) | instskip(SKIP_3) | instid1(VALU_DEP_4)
	v_fma_f32 v122, -0.5, v70, v61
	v_add_f32_e32 v69, v33, v32
	v_sub_f32_e32 v71, v45, v44
	v_fma_f32 v30, -0.5, v125, v30
	v_dual_fmamk_f32 v59, v74, 0xbf5db3d7, v35 :: v_dual_fmamk_f32 v124, v72, 0xbf5db3d7, v122
	s_delay_alu instid0(VALU_DEP_4) | instskip(SKIP_3) | instid1(VALU_DEP_4)
	v_fma_f32 v121, -0.5, v69, v60
	v_dual_fmac_f32 v35, 0x3f5db3d7, v74 :: v_dual_fmamk_f32 v62, v82, 0x3f5db3d7, v28
	v_fmamk_f32 v63, v123, 0xbf5db3d7, v29
	v_dual_fmac_f32 v29, 0x3f5db3d7, v123 :: v_dual_fmamk_f32 v66, v126, 0x3f5db3d7, v30
	v_dual_fmamk_f32 v123, v71, 0x3f5db3d7, v121 :: v_dual_fmac_f32 v122, 0x3f5db3d7, v72
	v_fmac_f32_e32 v121, 0xbf5db3d7, v71
	v_and_b32_e32 v138, 0xffff, v76
	v_fmac_f32_e32 v28, 0xbf5db3d7, v82
	v_fmac_f32_e32 v30, 0xbf5db3d7, v126
	ds_store_2addr_b64 v137, v[52:53], v[62:63] offset1:52
	ds_store_b64 v137, v[28:29] offset:832
	ds_store_2addr_b64 v136, v[54:55], v[66:67] offset1:52
	ds_store_b64 v136, v[30:31] offset:832
	;; [unrolled: 2-line block ×4, first 2 shown]
	s_and_saveexec_b32 s1, s0
	s_cbranch_execz .LBB0_9
; %bb.8:
	v_dual_add_f32 v28, v61, v45 :: v_dual_lshlrev_b32 v31, 3, v138
	v_add_f32_e32 v30, v60, v33
	s_delay_alu instid0(VALU_DEP_2) | instskip(NEXT) | instid1(VALU_DEP_2)
	v_add_f32_e32 v29, v28, v44
	v_add_f32_e32 v28, v30, v32
	s_delay_alu instid0(VALU_DEP_4)
	v_add_nc_u32_e32 v30, 0x3800, v31
	ds_store_2addr_b64 v30, v[28:29], v[123:124] offset0:80 offset1:132
	ds_store_b64 v31, v[121:122] offset:15808
.LBB0_9:
	s_wait_alu 0xfffe
	s_or_b32 exec_lo, exec_lo, s1
	v_mad_co_u64_u32 v[139:140], null, 0x60, v128, s[10:11]
	global_wb scope:SCOPE_SE
	s_wait_dscnt 0x0
	s_barrier_signal -1
	s_barrier_wait -1
	global_inv scope:SCOPE_SE
	s_add_nc_u64 s[8:9], s[8:9], 0x3f60
	s_clause 0x3
	global_load_b128 v[48:51], v[139:140], off offset:1144
	global_load_b128 v[44:47], v[139:140], off offset:1160
	;; [unrolled: 1-line block ×4, first 2 shown]
	v_add_nc_u32_e32 v66, 0x800, v127
	v_add_nc_u32_e32 v70, 0x1200, v127
	ds_load_2addr_b64 v[52:55], v66 offset0:56 offset1:212
	ds_load_2addr_b64 v[56:59], v70 offset0:48 offset1:204
	s_wait_loadcnt_dscnt 0x301
	v_mul_f32_e32 v69, v53, v51
	s_wait_loadcnt 0x2
	v_dual_mul_f32 v73, v54, v45 :: v_dual_mul_f32 v72, v52, v51
	s_wait_dscnt 0x0
	v_dual_mul_f32 v71, v55, v45 :: v_dual_mul_f32 v74, v56, v47
	s_wait_loadcnt 0x1
	v_mul_f32_e32 v75, v58, v33
	v_fmac_f32_e32 v73, v55, v44
	v_dual_fmac_f32 v72, v53, v50 :: v_dual_add_nc_u32 v67, 0x1c00, v127
	v_fma_f32 v77, v52, v50, -v69
	v_fma_f32 v78, v54, v44, -v71
	v_mul_f32_e32 v52, v59, v33
	ds_load_2addr_b64 v[60:63], v67 offset0:40 offset1:196
	v_mul_f32_e32 v79, v57, v47
	v_dual_fmac_f32 v74, v57, v46 :: v_dual_fmac_f32 v75, v59, v32
	v_fma_f32 v81, v58, v32, -v52
	v_add_nc_u32_e32 v69, 0x3000, v127
	s_wait_dscnt 0x0
	v_mul_f32_e32 v53, v61, v35
	v_mul_f32_e32 v76, v60, v35
	s_wait_loadcnt 0x0
	v_dual_mul_f32 v52, v63, v29 :: v_dual_add_nc_u32 v71, 0x2400, v127
	v_fma_f32 v80, v56, v46, -v79
	v_fma_f32 v82, v60, v34, -v53
	v_fmac_f32_e32 v76, v61, v34
	ds_load_2addr_b64 v[58:61], v71 offset0:96 offset1:252
	v_mul_f32_e32 v79, v62, v29
	v_fma_f32 v83, v62, v28, -v52
	s_delay_alu instid0(VALU_DEP_1) | instskip(SKIP_3) | instid1(VALU_DEP_2)
	v_dual_fmac_f32 v79, v63, v28 :: v_dual_add_f32 v194, v82, v83
	s_wait_dscnt 0x0
	v_mul_f32_e32 v126, v58, v31
	v_mul_f32_e32 v52, v59, v31
	v_fmac_f32_e32 v126, v59, v30
	s_delay_alu instid0(VALU_DEP_2)
	v_fma_f32 v125, v58, v30, -v52
	s_clause 0x1
	global_load_b128 v[56:59], v[139:140], off offset:1208
	global_load_b128 v[52:55], v[139:140], off offset:1224
	s_wait_loadcnt 0x1
	v_dual_add_f32 v191, v75, v126 :: v_dual_mul_f32 v62, v61, v57
	v_mul_f32_e32 v140, v60, v57
	s_delay_alu instid0(VALU_DEP_2) | instskip(NEXT) | instid1(VALU_DEP_2)
	v_fma_f32 v139, v60, v56, -v62
	v_fmac_f32_e32 v140, v61, v56
	ds_load_2addr_b64 v[60:63], v69 offset0:24 offset1:180
	s_wait_dscnt 0x0
	v_mul_f32_e32 v141, v61, v59
	v_mul_f32_e32 v142, v60, v59
	s_delay_alu instid0(VALU_DEP_2) | instskip(SKIP_2) | instid1(VALU_DEP_3)
	v_fma_f32 v141, v60, v58, -v141
	s_wait_loadcnt 0x0
	v_mul_f32_e32 v60, v63, v53
	v_fmac_f32_e32 v142, v61, v58
	s_delay_alu instid0(VALU_DEP_3) | instskip(NEXT) | instid1(VALU_DEP_3)
	v_sub_f32_e32 v182, v78, v141
	v_fma_f32 v143, v62, v52, -v60
	ds_load_b64 v[60:61], v127 offset:14976
	v_sub_f32_e32 v181, v77, v143
	s_wait_dscnt 0x0
	v_mul_f32_e32 v146, v60, v55
	s_delay_alu instid0(VALU_DEP_1) | instskip(SKIP_2) | instid1(VALU_DEP_2)
	v_fmac_f32_e32 v146, v61, v54
	v_mul_f32_e32 v144, v62, v53
	v_mul_f32_e32 v62, v61, v55
	v_fmac_f32_e32 v144, v63, v52
	s_delay_alu instid0(VALU_DEP_2) | instskip(SKIP_3) | instid1(VALU_DEP_1)
	v_fma_f32 v145, v60, v54, -v62
	ds_load_2addr_b64 v[60:63], v127 offset1:156
	s_wait_dscnt 0x0
	v_mul_f32_e32 v147, v62, v49
	v_fmac_f32_e32 v147, v63, v48
	v_mul_f32_e32 v63, v63, v49
	v_sub_f32_e32 v183, v74, v140
	v_add_f32_e32 v185, v74, v140
	s_delay_alu instid0(VALU_DEP_3) | instskip(SKIP_1) | instid1(VALU_DEP_1)
	v_fma_f32 v62, v62, v48, -v63
	v_sub_f32_e32 v63, v147, v146
	v_dual_add_f32 v174, v60, v62 :: v_dual_mul_f32 v155, 0xbe750f2a, v63
	v_mul_f32_e32 v148, 0xbeedf032, v63
	v_mul_f32_e32 v149, 0xbf52af12, v63
	;; [unrolled: 1-line block ×4, first 2 shown]
	v_dual_mul_f32 v152, 0xbf29c268, v63 :: v_dual_add_f32 v63, v62, v145
	v_dual_add_f32 v175, v61, v147 :: v_dual_sub_f32 v180, v72, v144
	s_delay_alu instid0(VALU_DEP_2)
	v_fma_f32 v153, 0x3f62ad3f, v63, -v148
	v_fma_f32 v154, 0x3f116cb1, v63, -v149
	v_fmac_f32_e32 v149, 0x3f116cb1, v63
	v_fma_f32 v157, 0xbeb58ec6, v63, -v151
	v_fma_f32 v158, 0xbf3f9e67, v63, -v152
	v_fmac_f32_e32 v152, 0xbf3f9e67, v63
	v_fma_f32 v163, 0xbf788fa5, v63, -v155
	v_fmac_f32_e32 v155, 0xbf788fa5, v63
	v_add_f32_e32 v165, v147, v146
	v_fmac_f32_e32 v151, 0xbeb58ec6, v63
	v_add_f32_e32 v147, v60, v153
	v_fma_f32 v156, 0x3df6dbef, v63, -v150
	v_fmac_f32_e32 v148, 0x3f62ad3f, v63
	v_dual_fmac_f32 v150, 0x3df6dbef, v63 :: v_dual_sub_f32 v63, v62, v145
	v_add_f32_e32 v176, v60, v154
	s_delay_alu instid0(VALU_DEP_4) | instskip(NEXT) | instid1(VALU_DEP_4)
	v_add_f32_e32 v177, v60, v156
	v_add_f32_e32 v62, v60, v148
	;; [unrolled: 1-line block ×3, first 2 shown]
	v_mul_f32_e32 v159, 0xbeedf032, v63
	v_mul_f32_e32 v160, 0xbf52af12, v63
	;; [unrolled: 1-line block ×6, first 2 shown]
	v_fmamk_f32 v166, v165, 0x3f62ad3f, v159
	v_fmamk_f32 v168, v165, 0x3df6dbef, v161
	v_fma_f32 v171, 0xbeb58ec6, v165, -v162
	v_fma_f32 v169, 0x3df6dbef, v165, -v161
	v_fmamk_f32 v173, v165, 0xbf788fa5, v63
	v_fmamk_f32 v170, v165, 0xbeb58ec6, v162
	v_add_f32_e32 v166, v61, v166
	v_fma_f32 v159, 0x3f62ad3f, v165, -v159
	v_add_f32_e32 v153, v61, v171
	v_add_f32_e32 v171, v60, v158
	v_dual_fmamk_f32 v167, v165, 0x3f116cb1, v160 :: v_dual_add_f32 v162, v60, v149
	v_fma_f32 v160, 0x3f116cb1, v165, -v160
	v_add_f32_e32 v173, v61, v173
	v_fmamk_f32 v172, v165, 0xbf3f9e67, v164
	v_fma_f32 v164, 0xbf3f9e67, v165, -v164
	v_fma_f32 v165, 0xbf788fa5, v165, -v63
	v_add_f32_e32 v63, v61, v159
	v_add_f32_e32 v167, v61, v167
	;; [unrolled: 1-line block ×3, first 2 shown]
	v_dual_add_f32 v168, v61, v168 :: v_dual_mul_f32 v149, 0xbf52af12, v181
	v_dual_add_f32 v159, v61, v169 :: v_dual_add_f32 v160, v60, v150
	v_dual_add_f32 v169, v60, v157 :: v_dual_add_f32 v170, v61, v170
	;; [unrolled: 1-line block ×3, first 2 shown]
	v_add_f32_e32 v172, v61, v172
	v_add_f32_e32 v151, v60, v152
	v_dual_add_f32 v150, v61, v164 :: v_dual_mul_f32 v157, 0xbf7e222b, v182
	v_add_f32_e32 v178, v60, v163
	v_dual_add_f32 v61, v77, v143 :: v_dual_add_f32 v152, v78, v141
	v_dual_mul_f32 v60, 0xbf52af12, v180 :: v_dual_add_f32 v77, v174, v77
	v_mul_f32_e32 v201, 0x3f7e222b, v180
	s_delay_alu instid0(VALU_DEP_2) | instskip(NEXT) | instid1(VALU_DEP_1)
	v_fma_f32 v148, 0x3f116cb1, v61, -v60
	v_dual_fmac_f32 v60, 0x3f116cb1, v61 :: v_dual_add_f32 v155, v148, v147
	v_add_f32_e32 v148, v72, v144
	v_dual_add_f32 v72, v175, v72 :: v_dual_add_f32 v77, v77, v78
	s_delay_alu instid0(VALU_DEP_3) | instskip(NEXT) | instid1(VALU_DEP_3)
	v_add_f32_e32 v60, v60, v62
	v_fmamk_f32 v147, v148, 0x3f116cb1, v149
	s_delay_alu instid0(VALU_DEP_3) | instskip(NEXT) | instid1(VALU_DEP_2)
	v_add_f32_e32 v72, v72, v73
	v_add_f32_e32 v158, v147, v166
	v_sub_f32_e32 v166, v73, v142
	s_delay_alu instid0(VALU_DEP_3) | instskip(NEXT) | instid1(VALU_DEP_1)
	v_add_f32_e32 v72, v72, v74
	v_dual_mul_f32 v147, 0xbf7e222b, v166 :: v_dual_add_f32 v72, v72, v75
	s_delay_alu instid0(VALU_DEP_1) | instskip(NEXT) | instid1(VALU_DEP_2)
	v_fma_f32 v156, 0x3df6dbef, v152, -v147
	v_add_f32_e32 v72, v72, v76
	v_fmac_f32_e32 v147, 0x3df6dbef, v152
	s_delay_alu instid0(VALU_DEP_3) | instskip(NEXT) | instid1(VALU_DEP_3)
	v_dual_add_f32 v163, v156, v155 :: v_dual_add_f32 v156, v73, v142
	v_dual_add_f32 v73, v77, v80 :: v_dual_add_f32 v72, v72, v79
	s_delay_alu instid0(VALU_DEP_3) | instskip(NEXT) | instid1(VALU_DEP_3)
	v_dual_mul_f32 v77, 0xbf6f5d39, v181 :: v_dual_add_f32 v60, v147, v60
	v_fmamk_f32 v155, v156, 0x3df6dbef, v157
	s_delay_alu instid0(VALU_DEP_3) | instskip(SKIP_1) | instid1(VALU_DEP_3)
	v_dual_add_f32 v73, v73, v81 :: v_dual_add_f32 v72, v72, v126
	v_mul_f32_e32 v78, 0xbe750f2a, v166
	v_add_f32_e32 v164, v155, v158
	v_add_f32_e32 v158, v80, v139
	v_mul_f32_e32 v155, 0xbf6f5d39, v183
	v_dual_add_f32 v73, v73, v82 :: v_dual_add_f32 v72, v72, v140
	v_mul_f32_e32 v140, 0xbe750f2a, v181
	s_delay_alu instid0(VALU_DEP_3) | instskip(NEXT) | instid1(VALU_DEP_3)
	v_fma_f32 v184, 0xbeb58ec6, v158, -v155
	v_dual_add_f32 v73, v73, v83 :: v_dual_add_f32 v72, v72, v142
	v_fmac_f32_e32 v155, 0xbeb58ec6, v158
	s_delay_alu instid0(VALU_DEP_3) | instskip(SKIP_4) | instid1(VALU_DEP_2)
	v_add_f32_e32 v163, v184, v163
	v_sub_f32_e32 v184, v80, v139
	v_add_f32_e32 v188, v81, v125
	v_dual_add_f32 v73, v73, v125 :: v_dual_add_f32 v74, v72, v144
	v_add_f32_e32 v60, v155, v60
	v_dual_mul_f32 v186, 0xbf6f5d39, v184 :: v_dual_add_f32 v73, v73, v139
	v_mul_f32_e32 v139, 0xbe750f2a, v180
	s_delay_alu instid0(VALU_DEP_2) | instskip(NEXT) | instid1(VALU_DEP_3)
	v_fmamk_f32 v187, v185, 0xbeb58ec6, v186
	v_dual_mul_f32 v80, 0x3f29c268, v183 :: v_dual_add_f32 v73, v73, v141
	v_mul_f32_e32 v141, 0x3f6f5d39, v166
	v_dual_mul_f32 v174, 0xbf7e222b, v183 :: v_dual_mul_f32 v175, 0xbf7e222b, v184
	s_delay_alu instid0(VALU_DEP_4)
	v_add_f32_e32 v164, v187, v164
	v_sub_f32_e32 v187, v75, v126
	v_add_f32_e32 v73, v73, v143
	v_fma_f32 v142, 0xbeb58ec6, v152, -v141
	v_fmamk_f32 v75, v148, 0xbf788fa5, v140
	v_fma_f32 v62, 0xbeb58ec6, v185, -v186
	s_delay_alu instid0(VALU_DEP_4) | instskip(SKIP_3) | instid1(VALU_DEP_4)
	v_dual_mul_f32 v189, 0xbf29c268, v187 :: v_dual_add_f32 v72, v73, v145
	v_add_f32_e32 v73, v74, v146
	v_fma_f32 v74, 0xbf788fa5, v152, -v78
	v_add_f32_e32 v75, v75, v168
	v_fma_f32 v190, 0xbf3f9e67, v188, -v189
	s_delay_alu instid0(VALU_DEP_1) | instskip(SKIP_2) | instid1(VALU_DEP_2)
	v_dual_mul_f32 v168, 0x3f29c268, v181 :: v_dual_add_f32 v163, v190, v163
	v_dual_sub_f32 v190, v81, v125 :: v_dual_mul_f32 v81, 0x3f29c268, v184
	v_fmac_f32_e32 v189, 0xbf3f9e67, v188
	v_mul_f32_e32 v192, 0xbf29c268, v190
	s_delay_alu instid0(VALU_DEP_1) | instskip(NEXT) | instid1(VALU_DEP_1)
	v_dual_add_f32 v60, v189, v60 :: v_dual_fmamk_f32 v193, v191, 0xbf3f9e67, v192
	v_dual_add_f32 v164, v193, v164 :: v_dual_sub_f32 v193, v76, v79
	s_delay_alu instid0(VALU_DEP_1) | instskip(SKIP_1) | instid1(VALU_DEP_2)
	v_mul_f32_e32 v195, 0xbe750f2a, v193
	v_dual_add_f32 v197, v76, v79 :: v_dual_mul_f32 v76, 0xbf6f5d39, v180
	v_fma_f32 v196, 0xbf788fa5, v194, -v195
	v_fmac_f32_e32 v195, 0xbf788fa5, v194
	s_delay_alu instid0(VALU_DEP_2) | instskip(SKIP_2) | instid1(VALU_DEP_4)
	v_add_f32_e32 v163, v196, v163
	v_sub_f32_e32 v196, v82, v83
	v_dual_mul_f32 v82, 0x3f7e222b, v187 :: v_dual_mul_f32 v83, 0x3f7e222b, v190
	v_add_f32_e32 v60, v195, v60
	s_delay_alu instid0(VALU_DEP_3) | instskip(NEXT) | instid1(VALU_DEP_1)
	v_mul_f32_e32 v198, 0xbe750f2a, v196
	v_fmamk_f32 v199, v197, 0xbf788fa5, v198
	v_mul_f32_e32 v126, 0x3eedf032, v196
	v_mul_f32_e32 v200, 0x3f52af12, v196
	s_delay_alu instid0(VALU_DEP_3) | instskip(SKIP_3) | instid1(VALU_DEP_1)
	v_dual_add_f32 v164, v199, v164 :: v_dual_mul_f32 v199, 0x3f52af12, v193
	ds_store_2addr_b64 v127, v[72:73], v[163:164] offset1:156
	v_fma_f32 v72, 0xbeb58ec6, v61, -v76
	v_dual_fmamk_f32 v73, v148, 0xbeb58ec6, v77 :: v_dual_fmac_f32 v76, 0xbeb58ec6, v61
	v_dual_add_f32 v72, v72, v176 :: v_dual_add_f32 v73, v73, v167
	v_mul_f32_e32 v176, 0x3e750f2a, v187
	s_delay_alu instid0(VALU_DEP_2) | instskip(NEXT) | instid1(VALU_DEP_1)
	v_dual_add_f32 v72, v74, v72 :: v_dual_mul_f32 v79, 0xbe750f2a, v182
	v_fmamk_f32 v74, v156, 0xbf788fa5, v79
	s_delay_alu instid0(VALU_DEP_1) | instskip(SKIP_3) | instid1(VALU_DEP_3)
	v_add_f32_e32 v73, v74, v73
	v_fma_f32 v74, 0xbf3f9e67, v158, -v80
	v_fmac_f32_e32 v78, 0xbf788fa5, v152
	v_fmac_f32_e32 v80, 0xbf3f9e67, v158
	v_add_f32_e32 v72, v74, v72
	v_fmamk_f32 v74, v185, 0xbf3f9e67, v81
	s_delay_alu instid0(VALU_DEP_1) | instskip(SKIP_2) | instid1(VALU_DEP_2)
	v_add_f32_e32 v73, v74, v73
	v_fma_f32 v74, 0x3df6dbef, v188, -v82
	v_fmac_f32_e32 v82, 0x3df6dbef, v188
	v_add_f32_e32 v72, v74, v72
	v_fmamk_f32 v74, v191, 0x3df6dbef, v83
	v_mul_f32_e32 v125, 0x3eedf032, v193
	s_delay_alu instid0(VALU_DEP_2) | instskip(NEXT) | instid1(VALU_DEP_2)
	v_add_f32_e32 v73, v74, v73
	v_fma_f32 v74, 0x3f62ad3f, v194, -v125
	s_delay_alu instid0(VALU_DEP_1) | instskip(SKIP_1) | instid1(VALU_DEP_1)
	v_add_f32_e32 v72, v74, v72
	v_dual_fmamk_f32 v74, v197, 0x3f62ad3f, v126 :: v_dual_fmac_f32 v125, 0x3f62ad3f, v194
	v_add_f32_e32 v73, v74, v73
	v_fma_f32 v74, 0xbf788fa5, v61, -v139
	s_delay_alu instid0(VALU_DEP_1) | instskip(NEXT) | instid1(VALU_DEP_1)
	v_dual_add_f32 v74, v74, v177 :: v_dual_mul_f32 v177, 0x3e750f2a, v190
	v_dual_fmac_f32 v139, 0xbf788fa5, v61 :: v_dual_add_f32 v74, v142, v74
	v_mul_f32_e32 v142, 0x3f6f5d39, v182
	s_delay_alu instid0(VALU_DEP_1) | instskip(NEXT) | instid1(VALU_DEP_1)
	v_fmamk_f32 v143, v156, 0xbeb58ec6, v142
	v_add_f32_e32 v75, v143, v75
	v_mul_f32_e32 v143, 0x3eedf032, v183
	s_delay_alu instid0(VALU_DEP_1) | instskip(NEXT) | instid1(VALU_DEP_1)
	v_fma_f32 v144, 0x3f62ad3f, v158, -v143
	v_add_f32_e32 v74, v144, v74
	v_mul_f32_e32 v144, 0x3eedf032, v184
	s_delay_alu instid0(VALU_DEP_1) | instskip(NEXT) | instid1(VALU_DEP_1)
	v_fmamk_f32 v145, v185, 0x3f62ad3f, v144
	v_add_f32_e32 v75, v145, v75
	v_mul_f32_e32 v145, 0xbf52af12, v187
	s_delay_alu instid0(VALU_DEP_1) | instskip(NEXT) | instid1(VALU_DEP_1)
	v_fma_f32 v146, 0x3f116cb1, v188, -v145
	v_add_f32_e32 v74, v146, v74
	;; [unrolled: 8-line block ×3, first 2 shown]
	v_mul_f32_e32 v164, 0xbf29c268, v196
	v_fmac_f32_e32 v163, 0xbf3f9e67, v194
	s_delay_alu instid0(VALU_DEP_2) | instskip(NEXT) | instid1(VALU_DEP_1)
	v_fmamk_f32 v167, v197, 0xbf3f9e67, v164
	v_add_f32_e32 v75, v167, v75
	v_mul_f32_e32 v167, 0x3f29c268, v180
	ds_store_2addr_b64 v66, v[72:73], v[74:75] offset0:56 offset1:212
	v_fma_f32 v72, 0xbf3f9e67, v61, -v167
	v_fmamk_f32 v73, v148, 0xbf3f9e67, v168
	v_fmac_f32_e32 v167, 0xbf3f9e67, v61
	s_delay_alu instid0(VALU_DEP_3) | instskip(NEXT) | instid1(VALU_DEP_3)
	v_dual_add_f32 v72, v72, v169 :: v_dual_mul_f32 v169, 0x3eedf032, v166
	v_add_f32_e32 v73, v73, v170
	v_mul_f32_e32 v170, 0x3eedf032, v182
	s_delay_alu instid0(VALU_DEP_3) | instskip(NEXT) | instid1(VALU_DEP_1)
	v_fma_f32 v74, 0x3f62ad3f, v152, -v169
	v_add_f32_e32 v72, v74, v72
	s_delay_alu instid0(VALU_DEP_3) | instskip(NEXT) | instid1(VALU_DEP_1)
	v_fmamk_f32 v74, v156, 0x3f62ad3f, v170
	v_add_f32_e32 v73, v74, v73
	v_fma_f32 v74, 0x3df6dbef, v158, -v174
	v_fmac_f32_e32 v174, 0x3df6dbef, v158
	s_delay_alu instid0(VALU_DEP_2) | instskip(SKIP_1) | instid1(VALU_DEP_1)
	v_add_f32_e32 v72, v74, v72
	v_fmamk_f32 v74, v185, 0x3df6dbef, v175
	v_add_f32_e32 v73, v74, v73
	v_fma_f32 v74, 0xbf788fa5, v188, -v176
	v_fmac_f32_e32 v176, 0xbf788fa5, v188
	s_delay_alu instid0(VALU_DEP_2) | instskip(SKIP_1) | instid1(VALU_DEP_1)
	v_add_f32_e32 v72, v74, v72
	v_fmamk_f32 v74, v191, 0xbf788fa5, v177
	v_add_f32_e32 v73, v74, v73
	v_fma_f32 v74, 0x3f116cb1, v194, -v199
	s_delay_alu instid0(VALU_DEP_1) | instskip(SKIP_1) | instid1(VALU_DEP_1)
	v_add_f32_e32 v72, v74, v72
	v_fmamk_f32 v74, v197, 0x3f116cb1, v200
	v_add_f32_e32 v73, v74, v73
	v_fma_f32 v74, 0x3df6dbef, v61, -v201
	s_delay_alu instid0(VALU_DEP_1) | instskip(NEXT) | instid1(VALU_DEP_1)
	v_dual_add_f32 v74, v74, v171 :: v_dual_mul_f32 v171, 0x3f7e222b, v181
	v_fmamk_f32 v75, v148, 0x3df6dbef, v171
	s_delay_alu instid0(VALU_DEP_1) | instskip(SKIP_1) | instid1(VALU_DEP_2)
	v_dual_add_f32 v75, v75, v172 :: v_dual_mul_f32 v172, 0xbf52af12, v166
	v_mul_f32_e32 v166, 0xbf29c268, v166
	v_fma_f32 v202, 0x3f116cb1, v152, -v172
	v_fmac_f32_e32 v172, 0x3f116cb1, v152
	s_delay_alu instid0(VALU_DEP_2) | instskip(SKIP_2) | instid1(VALU_DEP_2)
	v_add_f32_e32 v74, v202, v74
	v_mul_f32_e32 v202, 0xbf52af12, v182
	v_fmac_f32_e32 v199, 0x3f116cb1, v194
	v_fmamk_f32 v203, v156, 0x3f116cb1, v202
	s_delay_alu instid0(VALU_DEP_1) | instskip(SKIP_1) | instid1(VALU_DEP_1)
	v_add_f32_e32 v75, v203, v75
	v_mul_f32_e32 v203, 0x3e750f2a, v183
	v_fma_f32 v204, 0xbf788fa5, v158, -v203
	s_delay_alu instid0(VALU_DEP_1) | instskip(SKIP_4) | instid1(VALU_DEP_4)
	v_add_f32_e32 v74, v204, v74
	v_mul_f32_e32 v204, 0x3e750f2a, v184
	v_fmac_f32_e32 v201, 0x3df6dbef, v61
	v_fmac_f32_e32 v203, 0xbf788fa5, v158
	;; [unrolled: 1-line block ×3, first 2 shown]
	v_fmamk_f32 v205, v185, 0xbf788fa5, v204
	s_delay_alu instid0(VALU_DEP_1) | instskip(SKIP_1) | instid1(VALU_DEP_1)
	v_add_f32_e32 v75, v205, v75
	v_mul_f32_e32 v205, 0x3eedf032, v187
	v_fma_f32 v206, 0x3f62ad3f, v188, -v205
	s_delay_alu instid0(VALU_DEP_1) | instskip(SKIP_2) | instid1(VALU_DEP_2)
	v_add_f32_e32 v74, v206, v74
	v_mul_f32_e32 v206, 0x3eedf032, v190
	v_fmac_f32_e32 v205, 0x3f62ad3f, v188
	v_fmamk_f32 v207, v191, 0x3f62ad3f, v206
	s_delay_alu instid0(VALU_DEP_1) | instskip(SKIP_1) | instid1(VALU_DEP_1)
	v_add_f32_e32 v75, v207, v75
	v_mul_f32_e32 v207, 0xbf6f5d39, v193
	v_fma_f32 v208, 0xbeb58ec6, v194, -v207
	s_delay_alu instid0(VALU_DEP_1) | instskip(SKIP_2) | instid1(VALU_DEP_2)
	v_add_f32_e32 v74, v208, v74
	v_mul_f32_e32 v208, 0xbf6f5d39, v196
	v_fmac_f32_e32 v207, 0xbeb58ec6, v194
	v_fmamk_f32 v209, v197, 0xbeb58ec6, v208
	s_delay_alu instid0(VALU_DEP_1) | instskip(SKIP_2) | instid1(VALU_DEP_1)
	v_add_f32_e32 v75, v209, v75
	ds_store_2addr_b64 v70, v[72:73], v[74:75] offset0:48 offset1:204
	v_dual_mul_f32 v74, 0x3eedf032, v180 :: v_dual_mul_f32 v75, 0x3eedf032, v181
	v_fma_f32 v72, 0x3f62ad3f, v61, -v74
	s_delay_alu instid0(VALU_DEP_2) | instskip(SKIP_1) | instid1(VALU_DEP_2)
	v_dual_fmamk_f32 v73, v148, 0x3f62ad3f, v75 :: v_dual_fmac_f32 v74, 0x3f62ad3f, v61
	v_fma_f32 v61, 0x3f116cb1, v148, -v149
	v_dual_add_f32 v72, v72, v178 :: v_dual_add_f32 v73, v73, v173
	v_fma_f32 v173, 0xbf3f9e67, v152, -v166
	s_delay_alu instid0(VALU_DEP_4) | instskip(NEXT) | instid1(VALU_DEP_4)
	v_add_f32_e32 v74, v74, v179
	v_dual_fmac_f32 v166, 0xbf3f9e67, v152 :: v_dual_add_f32 v61, v61, v63
	v_fma_f32 v63, 0xbf3f9e67, v191, -v192
	s_delay_alu instid0(VALU_DEP_4) | instskip(NEXT) | instid1(VALU_DEP_3)
	v_dual_add_f32 v72, v173, v72 :: v_dual_mul_f32 v173, 0xbf29c268, v182
	v_add_f32_e32 v74, v166, v74
	s_delay_alu instid0(VALU_DEP_2) | instskip(NEXT) | instid1(VALU_DEP_1)
	v_fmamk_f32 v178, v156, 0xbf3f9e67, v173
	v_dual_add_f32 v73, v178, v73 :: v_dual_mul_f32 v178, 0x3f52af12, v183
	s_delay_alu instid0(VALU_DEP_1) | instskip(NEXT) | instid1(VALU_DEP_1)
	v_fma_f32 v180, 0x3f116cb1, v158, -v178
	v_add_f32_e32 v72, v180, v72
	v_mul_f32_e32 v180, 0x3f52af12, v184
	v_fma_f32 v75, 0x3f62ad3f, v148, -v75
	v_mul_f32_e32 v184, 0x3f7e222b, v196
	s_delay_alu instid0(VALU_DEP_3) | instskip(NEXT) | instid1(VALU_DEP_3)
	v_fmamk_f32 v181, v185, 0x3f116cb1, v180
	v_add_f32_e32 v75, v75, v165
	v_fma_f32 v165, 0xbf3f9e67, v156, -v173
	s_delay_alu instid0(VALU_DEP_3) | instskip(SKIP_1) | instid1(VALU_DEP_3)
	v_add_f32_e32 v73, v181, v73
	v_mul_f32_e32 v181, 0xbf6f5d39, v187
	v_dual_add_f32 v75, v165, v75 :: v_dual_fmac_f32 v178, 0x3f116cb1, v158
	s_delay_alu instid0(VALU_DEP_2) | instskip(NEXT) | instid1(VALU_DEP_2)
	v_fma_f32 v182, 0xbeb58ec6, v188, -v181
	v_add_f32_e32 v74, v178, v74
	s_delay_alu instid0(VALU_DEP_2) | instskip(SKIP_2) | instid1(VALU_DEP_1)
	v_add_f32_e32 v72, v182, v72
	v_mul_f32_e32 v182, 0xbf6f5d39, v190
	v_fmac_f32_e32 v181, 0xbeb58ec6, v188
	v_dual_fmamk_f32 v183, v191, 0xbeb58ec6, v182 :: v_dual_add_f32 v74, v181, v74
	s_delay_alu instid0(VALU_DEP_1) | instskip(SKIP_2) | instid1(VALU_DEP_2)
	v_add_f32_e32 v73, v183, v73
	v_mul_f32_e32 v183, 0x3f7e222b, v193
	v_fma_f32 v165, 0x3f116cb1, v185, -v180
	v_fma_f32 v187, 0x3df6dbef, v194, -v183
	s_delay_alu instid0(VALU_DEP_2) | instskip(SKIP_1) | instid1(VALU_DEP_3)
	v_add_f32_e32 v75, v165, v75
	v_fma_f32 v165, 0xbeb58ec6, v191, -v182
	v_dual_fmac_f32 v183, 0x3df6dbef, v194 :: v_dual_add_f32 v72, v187, v72
	v_fmamk_f32 v187, v197, 0x3df6dbef, v184
	s_delay_alu instid0(VALU_DEP_3) | instskip(SKIP_1) | instid1(VALU_DEP_4)
	v_add_f32_e32 v75, v165, v75
	v_fma_f32 v165, 0x3df6dbef, v197, -v184
	v_add_f32_e32 v74, v183, v74
	s_delay_alu instid0(VALU_DEP_4) | instskip(NEXT) | instid1(VALU_DEP_3)
	v_add_f32_e32 v73, v187, v73
	v_add_f32_e32 v75, v165, v75
	ds_store_2addr_b64 v67, v[72:73], v[74:75] offset0:40 offset1:196
	v_add_f32_e32 v72, v76, v162
	v_fma_f32 v73, 0xbeb58ec6, v148, -v77
	v_fma_f32 v77, 0xbf3f9e67, v148, -v168
	v_fma_f32 v74, 0xbf788fa5, v156, -v79
	v_fma_f32 v75, 0xbf788fa5, v148, -v140
	v_add_f32_e32 v72, v78, v72
	v_fma_f32 v78, 0x3f62ad3f, v156, -v170
	v_add_f32_e32 v77, v77, v153
	v_add_f32_e32 v73, v73, v161
	v_fma_f32 v79, 0x3df6dbef, v148, -v171
	v_add_f32_e32 v72, v80, v72
	v_fma_f32 v76, 0xbeb58ec6, v156, -v142
	;; [unrolled: 2-line block ×4, first 2 shown]
	v_dual_add_f32 v72, v82, v72 :: v_dual_add_f32 v79, v79, v150
	s_delay_alu instid0(VALU_DEP_4) | instskip(SKIP_1) | instid1(VALU_DEP_3)
	v_add_f32_e32 v77, v78, v77
	v_fma_f32 v78, 0xbf788fa5, v191, -v177
	v_dual_add_f32 v73, v74, v73 :: v_dual_add_f32 v72, v125, v72
	v_fma_f32 v74, 0x3df6dbef, v191, -v83
	v_fma_f32 v80, 0x3f116cb1, v156, -v202
	s_delay_alu instid0(VALU_DEP_4) | instskip(SKIP_1) | instid1(VALU_DEP_4)
	v_add_f32_e32 v77, v78, v77
	v_fma_f32 v78, 0x3f116cb1, v197, -v200
	v_add_f32_e32 v73, v74, v73
	v_fma_f32 v74, 0x3f62ad3f, v197, -v126
	v_add_f32_e32 v79, v80, v79
	s_delay_alu instid0(VALU_DEP_4) | instskip(SKIP_2) | instid1(VALU_DEP_3)
	v_dual_add_f32 v77, v78, v77 :: v_dual_add_f32 v78, v201, v151
	v_fmac_f32_e32 v169, 0x3f62ad3f, v152
	v_fma_f32 v80, 0xbf788fa5, v185, -v204
	v_add_f32_e32 v78, v172, v78
	v_fmac_f32_e32 v143, 0x3f62ad3f, v158
	v_fmac_f32_e32 v141, 0xbeb58ec6, v152
	v_dual_add_f32 v73, v74, v73 :: v_dual_add_f32 v74, v139, v160
	v_add_f32_e32 v79, v80, v79
	v_fma_f32 v80, 0x3f62ad3f, v191, -v206
	v_add_f32_e32 v78, v203, v78
	s_delay_alu instid0(VALU_DEP_2) | instskip(SKIP_1) | instid1(VALU_DEP_3)
	v_dual_add_f32 v74, v141, v74 :: v_dual_add_f32 v79, v80, v79
	v_fma_f32 v80, 0xbeb58ec6, v197, -v208
	v_add_f32_e32 v78, v205, v78
	s_delay_alu instid0(VALU_DEP_3) | instskip(SKIP_1) | instid1(VALU_DEP_4)
	v_add_f32_e32 v74, v143, v74
	v_add_f32_e32 v75, v75, v159
	;; [unrolled: 1-line block ×3, first 2 shown]
	v_fma_f32 v80, 0x3df6dbef, v156, -v157
	s_delay_alu instid0(VALU_DEP_3) | instskip(SKIP_1) | instid1(VALU_DEP_3)
	v_dual_add_f32 v74, v145, v74 :: v_dual_add_f32 v75, v76, v75
	v_fma_f32 v76, 0x3f62ad3f, v185, -v144
	v_dual_add_f32 v78, v207, v78 :: v_dual_add_f32 v61, v80, v61
	s_delay_alu instid0(VALU_DEP_2) | instskip(SKIP_1) | instid1(VALU_DEP_3)
	v_dual_add_f32 v74, v163, v74 :: v_dual_add_f32 v75, v76, v75
	v_fma_f32 v76, 0x3f116cb1, v191, -v146
	v_add_f32_e32 v61, v62, v61
	v_fma_f32 v62, 0xbf788fa5, v197, -v198
	s_delay_alu instid0(VALU_DEP_3) | instskip(SKIP_1) | instid1(VALU_DEP_4)
	v_add_f32_e32 v75, v76, v75
	v_fma_f32 v76, 0xbf3f9e67, v197, -v164
	v_add_f32_e32 v61, v63, v61
	s_delay_alu instid0(VALU_DEP_2) | instskip(NEXT) | instid1(VALU_DEP_1)
	v_dual_add_f32 v75, v76, v75 :: v_dual_add_f32 v76, v167, v154
	v_dual_add_f32 v61, v62, v61 :: v_dual_add_f32 v76, v169, v76
	s_delay_alu instid0(VALU_DEP_1) | instskip(NEXT) | instid1(VALU_DEP_1)
	v_add_f32_e32 v76, v174, v76
	v_add_f32_e32 v76, v176, v76
	s_delay_alu instid0(VALU_DEP_1)
	v_add_f32_e32 v76, v199, v76
	ds_store_2addr_b64 v71, v[78:79], v[76:77] offset0:96 offset1:252
	ds_store_2addr_b64 v69, v[74:75], v[72:73] offset0:24 offset1:180
	ds_store_b64 v127, v[60:61] offset:14976
	global_wb scope:SCOPE_SE
	s_wait_dscnt 0x0
	s_barrier_signal -1
	s_barrier_wait -1
	global_inv scope:SCOPE_SE
	s_clause 0x1
	global_load_b64 v[64:65], v[64:65], off offset:16224
	global_load_b64 v[72:73], v127, s[8:9] offset:1248
	ds_load_2addr_b64 v[60:63], v127 offset1:156
	s_clause 0x1
	global_load_b64 v[74:75], v127, s[8:9] offset:3744
	global_load_b64 v[76:77], v127, s[8:9] offset:6240
	s_wait_loadcnt_dscnt 0x300
	v_mul_f32_e32 v78, v61, v65
	v_mul_f32_e32 v79, v60, v65
	s_delay_alu instid0(VALU_DEP_2) | instskip(SKIP_1) | instid1(VALU_DEP_2)
	v_fma_f32 v78, v60, v64, -v78
	s_wait_loadcnt 0x2
	v_dual_fmac_f32 v79, v61, v64 :: v_dual_mul_f32 v60, v63, v73
	v_mul_f32_e32 v61, v62, v73
	s_delay_alu instid0(VALU_DEP_2) | instskip(NEXT) | instid1(VALU_DEP_2)
	v_fma_f32 v60, v62, v72, -v60
	v_fmac_f32_e32 v61, v63, v72
	s_clause 0x1
	global_load_b64 v[64:65], v127, s[8:9] offset:2496
	global_load_b64 v[72:73], v127, s[8:9] offset:4992
	ds_store_2addr_b64 v127, v[78:79], v[60:61] offset1:156
	global_load_b64 v[78:79], v127, s[8:9] offset:7488
	ds_load_b64 v[80:81], v127 offset:14976
	ds_load_2addr_b64 v[60:63], v66 offset0:56 offset1:212
	s_wait_loadcnt_dscnt 0x200
	v_mul_f32_e32 v82, v61, v65
	v_mul_f32_e32 v83, v60, v65
	;; [unrolled: 1-line block ×3, first 2 shown]
	s_delay_alu instid0(VALU_DEP_3) | instskip(NEXT) | instid1(VALU_DEP_3)
	v_fma_f32 v82, v60, v64, -v82
	v_dual_mul_f32 v60, v63, v75 :: v_dual_fmac_f32 v83, v61, v64
	s_delay_alu instid0(VALU_DEP_3) | instskip(NEXT) | instid1(VALU_DEP_2)
	v_fmac_f32_e32 v65, v63, v74
	v_fma_f32 v64, v62, v74, -v60
	ds_load_2addr_b64 v[60:63], v70 offset0:48 offset1:204
	s_wait_loadcnt_dscnt 0x100
	v_mul_f32_e32 v74, v61, v73
	v_mul_f32_e32 v75, v60, v73
	;; [unrolled: 1-line block ×3, first 2 shown]
	s_delay_alu instid0(VALU_DEP_3) | instskip(NEXT) | instid1(VALU_DEP_3)
	v_fma_f32 v74, v60, v72, -v74
	v_dual_mul_f32 v60, v63, v77 :: v_dual_fmac_f32 v75, v61, v72
	s_delay_alu instid0(VALU_DEP_3) | instskip(NEXT) | instid1(VALU_DEP_2)
	v_fmac_f32_e32 v73, v63, v76
	v_fma_f32 v72, v62, v76, -v60
	ds_load_2addr_b64 v[60:63], v67 offset0:40 offset1:196
	s_wait_loadcnt_dscnt 0x0
	v_mul_f32_e32 v76, v61, v79
	v_mul_f32_e32 v77, v60, v79
	s_delay_alu instid0(VALU_DEP_2) | instskip(NEXT) | instid1(VALU_DEP_2)
	v_fma_f32 v76, v60, v78, -v76
	v_fmac_f32_e32 v77, v61, v78
	s_clause 0x3
	global_load_b64 v[60:61], v127, s[8:9] offset:8736
	global_load_b64 v[78:79], v127, s[8:9] offset:9984
	global_load_b64 v[125:126], v127, s[8:9] offset:11232
	global_load_b64 v[139:140], v127, s[8:9] offset:12480
	s_wait_loadcnt 0x3
	v_mul_f32_e32 v141, v63, v61
	v_mul_f32_e32 v142, v62, v61
	s_delay_alu instid0(VALU_DEP_2) | instskip(NEXT) | instid1(VALU_DEP_2)
	v_fma_f32 v141, v62, v60, -v141
	v_fmac_f32_e32 v142, v63, v60
	ds_load_2addr_b64 v[60:63], v71 offset0:96 offset1:252
	s_wait_loadcnt_dscnt 0x200
	v_mul_f32_e32 v143, v61, v79
	s_wait_loadcnt 0x1
	v_dual_mul_f32 v144, v60, v79 :: v_dual_mul_f32 v79, v62, v126
	s_delay_alu instid0(VALU_DEP_2) | instskip(SKIP_1) | instid1(VALU_DEP_3)
	v_fma_f32 v143, v60, v78, -v143
	v_mul_f32_e32 v60, v63, v126
	v_dual_fmac_f32 v144, v61, v78 :: v_dual_fmac_f32 v79, v63, v125
	s_delay_alu instid0(VALU_DEP_2) | instskip(SKIP_4) | instid1(VALU_DEP_2)
	v_fma_f32 v78, v62, v125, -v60
	ds_load_2addr_b64 v[60:63], v69 offset0:24 offset1:180
	s_wait_loadcnt_dscnt 0x0
	v_mul_f32_e32 v125, v61, v140
	v_mul_f32_e32 v126, v60, v140
	v_fma_f32 v125, v60, v139, -v125
	s_delay_alu instid0(VALU_DEP_2)
	v_fmac_f32_e32 v126, v61, v139
	s_clause 0x1
	global_load_b64 v[60:61], v127, s[8:9] offset:13728
	global_load_b64 v[139:140], v127, s[8:9] offset:14976
	s_wait_loadcnt 0x1
	v_mul_f32_e32 v145, v63, v61
	s_wait_loadcnt 0x0
	v_dual_mul_f32 v146, v62, v61 :: v_dual_mul_f32 v61, v80, v140
	s_delay_alu instid0(VALU_DEP_2) | instskip(NEXT) | instid1(VALU_DEP_2)
	v_fma_f32 v145, v62, v60, -v145
	v_fmac_f32_e32 v146, v63, v60
	v_mul_f32_e32 v60, v81, v140
	s_delay_alu instid0(VALU_DEP_4) | instskip(NEXT) | instid1(VALU_DEP_2)
	v_fmac_f32_e32 v61, v81, v139
	v_fma_f32 v60, v80, v139, -v60
	ds_store_2addr_b64 v66, v[82:83], v[64:65] offset0:56 offset1:212
	ds_store_2addr_b64 v70, v[74:75], v[72:73] offset0:48 offset1:204
	;; [unrolled: 1-line block ×5, first 2 shown]
	ds_store_b64 v127, v[60:61] offset:14976
	global_wb scope:SCOPE_SE
	s_wait_dscnt 0x0
	s_barrier_signal -1
	s_barrier_wait -1
	global_inv scope:SCOPE_SE
	ds_load_2addr_b64 v[141:144], v127 offset1:156
	ds_load_b64 v[60:61], v127 offset:14976
	s_wait_dscnt 0x0
	v_sub_f32_e32 v62, v144, v61
	s_delay_alu instid0(VALU_DEP_1)
	v_dual_add_f32 v74, v60, v143 :: v_dual_mul_f32 v63, 0xbeedf032, v62
	v_mul_f32_e32 v64, 0xbf52af12, v62
	v_mul_f32_e32 v65, 0xbf7e222b, v62
	;; [unrolled: 1-line block ×5, first 2 shown]
	v_fmamk_f32 v76, v74, 0x3f116cb1, v64
	v_fma_f32 v64, 0x3f116cb1, v74, -v64
	v_fmamk_f32 v77, v74, 0x3df6dbef, v65
	v_fma_f32 v65, 0x3df6dbef, v74, -v65
	;; [unrolled: 2-line block ×3, first 2 shown]
	v_add_f32_e32 v62, v61, v144
	v_fmamk_f32 v80, v74, 0xbeb58ec6, v72
	v_fma_f32 v72, 0xbeb58ec6, v74, -v72
	v_fmamk_f32 v81, v74, 0xbf3f9e67, v73
	v_fmamk_f32 v75, v74, 0x3f62ad3f, v63
	v_fma_f32 v63, 0x3f62ad3f, v74, -v63
	v_fma_f32 v73, 0xbf3f9e67, v74, -v73
	v_mul_f32_e32 v74, 0x3f62ad3f, v62
	v_mul_f32_e32 v78, 0x3f116cb1, v62
	;; [unrolled: 1-line block ×6, first 2 shown]
	v_sub_f32_e32 v62, v143, v60
	v_add_f32_e32 v155, v141, v76
	s_delay_alu instid0(VALU_DEP_2)
	v_fmamk_f32 v147, v62, 0x3f6f5d39, v126
	v_fmamk_f32 v79, v62, 0x3eedf032, v74
	v_fmac_f32_e32 v74, 0xbeedf032, v62
	v_fmamk_f32 v139, v62, 0x3f52af12, v78
	v_fmac_f32_e32 v78, 0xbf52af12, v62
	v_add_f32_e32 v160, v142, v147
	v_fmamk_f32 v140, v62, 0x3f7e222b, v83
	v_fmac_f32_e32 v83, 0xbf7e222b, v62
	v_fmac_f32_e32 v126, 0xbf6f5d39, v62
	v_fmamk_f32 v149, v62, 0x3e750f2a, v146
	v_fmac_f32_e32 v146, 0xbe750f2a, v62
	v_add_f32_e32 v154, v142, v79
	v_add_f32_e32 v76, v142, v83
	v_dual_fmamk_f32 v148, v62, 0x3f29c268, v145 :: v_dual_add_f32 v79, v141, v64
	v_dual_fmac_f32 v145, 0xbf29c268, v62 :: v_dual_add_f32 v62, v141, v63
	v_add_f32_e32 v156, v142, v139
	v_add_f32_e32 v158, v142, v140
	v_dual_add_f32 v159, v141, v80 :: v_dual_add_f32 v80, v142, v146
	v_add_f32_e32 v140, v141, v81
	v_add_f32_e32 v153, v141, v75
	v_add_f32_e32 v75, v141, v72
	v_add_f32_e32 v139, v142, v148
	v_dual_add_f32 v83, v141, v82 :: v_dual_add_f32 v82, v142, v149
	v_add_f32_e32 v72, v142, v145
	v_add_f32_e32 v81, v141, v125
	;; [unrolled: 1-line block ×3, first 2 shown]
	v_dual_add_f32 v78, v142, v78 :: v_dual_add_f32 v157, v141, v77
	v_add_f32_e32 v77, v141, v65
	v_add_f32_e32 v65, v142, v144
	ds_load_2addr_b64 v[145:148], v70 offset0:48 offset1:204
	ds_load_2addr_b64 v[149:152], v71 offset0:96 offset1:252
	v_add_f32_e32 v63, v142, v74
	v_dual_add_f32 v74, v142, v126 :: v_dual_add_f32 v73, v141, v73
	ds_load_2addr_b64 v[141:144], v66 offset0:56 offset1:212
	s_wait_dscnt 0x1
	v_dual_sub_f32 v126, v146, v152 :: v_dual_add_f32 v125, v152, v146
	v_dual_sub_f32 v163, v148, v150 :: v_dual_add_f32 v70, v149, v147
	s_wait_dscnt 0x0
	v_dual_add_f32 v64, v64, v141 :: v_dual_add_f32 v65, v65, v142
	v_dual_add_f32 v164, v150, v148 :: v_dual_sub_f32 v71, v147, v149
	s_delay_alu instid0(VALU_DEP_2) | instskip(NEXT) | instid1(VALU_DEP_3)
	v_dual_mul_f32 v169, 0xbf6f5d39, v126 :: v_dual_add_f32 v64, v64, v143
	v_add_f32_e32 v65, v65, v144
	s_delay_alu instid0(VALU_DEP_3) | instskip(SKIP_1) | instid1(VALU_DEP_4)
	v_mul_f32_e32 v172, 0xbf3f9e67, v164
	v_mul_f32_e32 v180, 0x3df6dbef, v164
	v_dual_mul_f32 v177, 0x3f29c268, v126 :: v_dual_add_f32 v64, v64, v145
	s_delay_alu instid0(VALU_DEP_4) | instskip(NEXT) | instid1(VALU_DEP_1)
	v_add_f32_e32 v65, v65, v146
	v_dual_add_f32 v161, v64, v147 :: v_dual_add_f32 v162, v65, v148
	v_dual_add_f32 v64, v151, v145 :: v_dual_sub_f32 v65, v145, v151
	ds_load_2addr_b64 v[145:148], v67 offset0:40 offset1:196
	s_wait_dscnt 0x0
	v_add_f32_e32 v67, v161, v145
	v_add_f32_e32 v161, v162, v146
	s_delay_alu instid0(VALU_DEP_2) | instskip(NEXT) | instid1(VALU_DEP_2)
	v_add_f32_e32 v67, v67, v147
	v_add_f32_e32 v161, v161, v148
	s_delay_alu instid0(VALU_DEP_2) | instskip(NEXT) | instid1(VALU_DEP_2)
	v_add_f32_e32 v67, v67, v149
	v_add_f32_e32 v149, v161, v150
	s_delay_alu instid0(VALU_DEP_1)
	v_dual_add_f32 v161, v67, v151 :: v_dual_add_f32 v162, v149, v152
	ds_load_2addr_b64 v[149:152], v69 offset0:24 offset1:180
	global_wb scope:SCOPE_SE
	s_wait_dscnt 0x0
	s_barrier_signal -1
	s_barrier_wait -1
	global_inv scope:SCOPE_SE
	v_add_f32_e32 v67, v151, v141
	v_sub_f32_e32 v69, v141, v151
	v_dual_add_f32 v165, v152, v142 :: v_dual_sub_f32 v166, v142, v152
	v_dual_add_f32 v167, v150, v144 :: v_dual_sub_f32 v142, v143, v149
	v_dual_sub_f32 v168, v144, v150 :: v_dual_add_f32 v141, v149, v143
	s_delay_alu instid0(VALU_DEP_2) | instskip(SKIP_3) | instid1(VALU_DEP_3)
	v_dual_add_f32 v143, v161, v149 :: v_dual_mul_f32 v176, 0xbf788fa5, v167
	v_add_f32_e32 v144, v162, v150
	v_dual_mul_f32 v161, 0xbf52af12, v166 :: v_dual_add_f32 v150, v147, v145
	v_dual_mul_f32 v162, 0x3df6dbef, v167 :: v_dual_sub_f32 v149, v146, v148
	v_add_f32_e32 v144, v144, v152
	v_sub_f32_e32 v152, v145, v147
	v_dual_add_f32 v143, v143, v151 :: v_dual_mul_f32 v178, 0xbf3f9e67, v125
	v_add_f32_e32 v151, v148, v146
	s_delay_alu instid0(VALU_DEP_4) | instskip(SKIP_1) | instid1(VALU_DEP_4)
	v_add_f32_e32 v61, v144, v61
	v_mul_f32_e32 v170, 0xbeb58ec6, v125
	v_add_f32_e32 v60, v143, v60
	v_fmamk_f32 v143, v67, 0x3f116cb1, v161
	v_mul_f32_e32 v182, 0x3f62ad3f, v151
	v_mul_f32_e32 v173, 0xbe750f2a, v149
	;; [unrolled: 1-line block ×4, first 2 shown]
	v_add_f32_e32 v143, v143, v153
	v_mul_f32_e32 v153, 0x3f116cb1, v165
	v_mul_f32_e32 v183, 0xbe750f2a, v166
	;; [unrolled: 1-line block ×3, first 2 shown]
	s_delay_alu instid0(VALU_DEP_3) | instskip(SKIP_1) | instid1(VALU_DEP_2)
	v_fmamk_f32 v144, v69, 0x3f52af12, v153
	v_mul_f32_e32 v171, 0xbf29c268, v163
	v_dual_mul_f32 v179, 0x3f7e222b, v163 :: v_dual_add_f32 v144, v144, v154
	v_mul_f32_e32 v154, 0xbf7e222b, v168
	s_delay_alu instid0(VALU_DEP_1) | instskip(NEXT) | instid1(VALU_DEP_1)
	v_fmamk_f32 v145, v141, 0x3df6dbef, v154
	v_add_f32_e32 v143, v145, v143
	v_fmamk_f32 v145, v142, 0x3f7e222b, v162
	v_fmac_f32_e32 v162, 0xbf7e222b, v142
	s_delay_alu instid0(VALU_DEP_2) | instskip(NEXT) | instid1(VALU_DEP_1)
	v_dual_add_f32 v144, v145, v144 :: v_dual_fmamk_f32 v145, v64, 0xbeb58ec6, v169
	v_add_f32_e32 v143, v145, v143
	v_fmamk_f32 v145, v65, 0x3f6f5d39, v170
	v_fmac_f32_e32 v170, 0xbf6f5d39, v65
	s_delay_alu instid0(VALU_DEP_2) | instskip(NEXT) | instid1(VALU_DEP_1)
	v_dual_add_f32 v144, v145, v144 :: v_dual_fmamk_f32 v145, v70, 0xbf3f9e67, v171
	;; [unrolled: 5-line block ×4, first 2 shown]
	v_add_f32_e32 v145, v145, v155
	v_mul_f32_e32 v155, 0xbeb58ec6, v165
	s_delay_alu instid0(VALU_DEP_1) | instskip(NEXT) | instid1(VALU_DEP_1)
	v_fmamk_f32 v146, v69, 0x3f6f5d39, v155
	v_add_f32_e32 v146, v146, v156
	v_mul_f32_e32 v156, 0xbe750f2a, v168
	s_delay_alu instid0(VALU_DEP_1) | instskip(NEXT) | instid1(VALU_DEP_1)
	v_fmamk_f32 v147, v141, 0xbf788fa5, v156
	v_add_f32_e32 v145, v147, v145
	v_fmamk_f32 v147, v142, 0x3e750f2a, v176
	v_fmac_f32_e32 v176, 0xbe750f2a, v142
	s_delay_alu instid0(VALU_DEP_2) | instskip(NEXT) | instid1(VALU_DEP_1)
	v_dual_add_f32 v146, v147, v146 :: v_dual_fmamk_f32 v147, v64, 0xbf3f9e67, v177
	v_add_f32_e32 v145, v147, v145
	v_fmamk_f32 v147, v65, 0xbf29c268, v178
	v_fmac_f32_e32 v178, 0x3f29c268, v65
	s_delay_alu instid0(VALU_DEP_2) | instskip(SKIP_2) | instid1(VALU_DEP_3)
	v_dual_add_f32 v146, v147, v146 :: v_dual_fmamk_f32 v147, v70, 0x3df6dbef, v179
	v_mul_f32_e32 v181, 0x3eedf032, v149
	v_mul_f32_e32 v202, 0xbf6f5d39, v149
	v_add_f32_e32 v145, v147, v145
	v_fmamk_f32 v147, v71, 0xbf7e222b, v180
	v_fmac_f32_e32 v180, 0x3f7e222b, v71
	s_delay_alu instid0(VALU_DEP_2) | instskip(NEXT) | instid1(VALU_DEP_1)
	v_dual_add_f32 v146, v147, v146 :: v_dual_fmamk_f32 v147, v150, 0x3f62ad3f, v181
	v_add_f32_e32 v145, v147, v145
	v_fmamk_f32 v147, v152, 0xbeedf032, v182
	v_fmac_f32_e32 v182, 0x3eedf032, v152
	s_delay_alu instid0(VALU_DEP_2) | instskip(SKIP_2) | instid1(VALU_DEP_2)
	v_add_f32_e32 v146, v147, v146
	v_fmamk_f32 v147, v67, 0xbf788fa5, v183
	v_fmac_f32_e32 v153, 0xbf52af12, v69
	v_add_f32_e32 v147, v147, v157
	v_mul_f32_e32 v157, 0xbf788fa5, v165
	s_delay_alu instid0(VALU_DEP_3) | instskip(NEXT) | instid1(VALU_DEP_1)
	v_add_f32_e32 v63, v153, v63
	v_dual_fmamk_f32 v148, v69, 0x3e750f2a, v157 :: v_dual_add_f32 v63, v162, v63
	s_delay_alu instid0(VALU_DEP_1) | instskip(NEXT) | instid1(VALU_DEP_2)
	v_add_f32_e32 v148, v148, v158
	v_dual_mul_f32 v158, 0x3f6f5d39, v168 :: v_dual_add_f32 v63, v170, v63
	s_delay_alu instid0(VALU_DEP_1) | instskip(NEXT) | instid1(VALU_DEP_1)
	v_dual_fmamk_f32 v184, v141, 0xbeb58ec6, v158 :: v_dual_add_f32 v63, v172, v63
	v_add_f32_e32 v147, v184, v147
	v_mul_f32_e32 v184, 0xbeb58ec6, v167
	s_delay_alu instid0(VALU_DEP_1) | instskip(SKIP_1) | instid1(VALU_DEP_2)
	v_fmamk_f32 v185, v142, 0xbf6f5d39, v184
	v_fmac_f32_e32 v184, 0x3f6f5d39, v142
	v_dual_add_f32 v148, v185, v148 :: v_dual_mul_f32 v185, 0x3eedf032, v126
	s_delay_alu instid0(VALU_DEP_1) | instskip(NEXT) | instid1(VALU_DEP_1)
	v_fmamk_f32 v186, v64, 0x3f62ad3f, v185
	v_dual_add_f32 v147, v186, v147 :: v_dual_mul_f32 v186, 0x3f62ad3f, v125
	s_delay_alu instid0(VALU_DEP_1) | instskip(SKIP_1) | instid1(VALU_DEP_2)
	v_fmamk_f32 v187, v65, 0xbeedf032, v186
	v_fmac_f32_e32 v186, 0x3eedf032, v65
	v_dual_add_f32 v148, v187, v148 :: v_dual_mul_f32 v187, 0xbf52af12, v163
	s_delay_alu instid0(VALU_DEP_1) | instskip(NEXT) | instid1(VALU_DEP_1)
	v_fmamk_f32 v188, v70, 0x3f116cb1, v187
	v_dual_add_f32 v147, v188, v147 :: v_dual_mul_f32 v188, 0x3f116cb1, v164
	s_delay_alu instid0(VALU_DEP_1) | instskip(SKIP_1) | instid1(VALU_DEP_2)
	v_fmamk_f32 v189, v71, 0x3f52af12, v188
	v_fmac_f32_e32 v188, 0xbf52af12, v71
	v_dual_add_f32 v148, v189, v148 :: v_dual_mul_f32 v189, 0xbf29c268, v149
	s_delay_alu instid0(VALU_DEP_1) | instskip(NEXT) | instid1(VALU_DEP_1)
	v_fmamk_f32 v190, v150, 0xbf3f9e67, v189
	v_add_f32_e32 v147, v190, v147
	v_mul_f32_e32 v190, 0xbf3f9e67, v151
	s_delay_alu instid0(VALU_DEP_1) | instskip(SKIP_1) | instid1(VALU_DEP_2)
	v_fmamk_f32 v191, v152, 0x3f29c268, v190
	v_fmac_f32_e32 v190, 0xbf29c268, v152
	v_add_f32_e32 v148, v191, v148
	ds_store_2addr_b64 v68, v[60:61], v[143:144] offset1:1
	ds_store_2addr_b64 v68, v[145:146], v[147:148] offset0:2 offset1:3
	v_mul_f32_e32 v143, 0x3f29c268, v166
	v_mul_f32_e32 v145, 0x3eedf032, v168
	v_mul_f32_e32 v144, 0xbf3f9e67, v165
	s_delay_alu instid0(VALU_DEP_3) | instskip(NEXT) | instid1(VALU_DEP_3)
	v_fmamk_f32 v60, v67, 0xbf3f9e67, v143
	v_fmamk_f32 v146, v141, 0x3f62ad3f, v145
	s_delay_alu instid0(VALU_DEP_3) | instskip(SKIP_1) | instid1(VALU_DEP_2)
	v_fmamk_f32 v61, v69, 0xbf29c268, v144
	v_fmac_f32_e32 v144, 0x3f29c268, v69
	v_dual_add_f32 v60, v60, v159 :: v_dual_add_f32 v61, v61, v160
	s_delay_alu instid0(VALU_DEP_2) | instskip(NEXT) | instid1(VALU_DEP_2)
	v_add_f32_e32 v74, v144, v74
	v_add_f32_e32 v60, v146, v60
	v_mul_f32_e32 v146, 0x3f62ad3f, v167
	s_delay_alu instid0(VALU_DEP_1) | instskip(NEXT) | instid1(VALU_DEP_1)
	v_fmamk_f32 v147, v142, 0xbeedf032, v146
	v_dual_fmac_f32 v146, 0x3eedf032, v142 :: v_dual_add_f32 v61, v147, v61
	v_mul_f32_e32 v147, 0xbf7e222b, v126
	s_delay_alu instid0(VALU_DEP_2) | instskip(NEXT) | instid1(VALU_DEP_2)
	v_add_f32_e32 v74, v146, v74
	v_fmamk_f32 v148, v64, 0x3df6dbef, v147
	s_delay_alu instid0(VALU_DEP_1) | instskip(SKIP_1) | instid1(VALU_DEP_1)
	v_add_f32_e32 v60, v148, v60
	v_mul_f32_e32 v148, 0x3df6dbef, v125
	v_fmamk_f32 v159, v65, 0x3f7e222b, v148
	v_fmac_f32_e32 v148, 0xbf7e222b, v65
	s_delay_alu instid0(VALU_DEP_2) | instskip(NEXT) | instid1(VALU_DEP_2)
	v_add_f32_e32 v61, v159, v61
	v_dual_mul_f32 v159, 0x3e750f2a, v163 :: v_dual_add_f32 v74, v148, v74
	s_delay_alu instid0(VALU_DEP_1) | instskip(NEXT) | instid1(VALU_DEP_1)
	v_fmamk_f32 v160, v70, 0xbf788fa5, v159
	v_add_f32_e32 v60, v160, v60
	v_mul_f32_e32 v160, 0xbf788fa5, v164
	s_delay_alu instid0(VALU_DEP_1) | instskip(NEXT) | instid1(VALU_DEP_1)
	v_fmamk_f32 v191, v71, 0xbe750f2a, v160
	v_dual_fmac_f32 v160, 0x3e750f2a, v71 :: v_dual_add_f32 v61, v191, v61
	v_mul_f32_e32 v191, 0x3f52af12, v149
	v_mul_f32_e32 v149, 0x3f7e222b, v149
	s_delay_alu instid0(VALU_DEP_2) | instskip(NEXT) | instid1(VALU_DEP_1)
	v_fmamk_f32 v192, v150, 0x3f116cb1, v191
	v_add_f32_e32 v60, v192, v60
	v_mul_f32_e32 v192, 0x3f116cb1, v151
	v_mul_f32_e32 v151, 0x3df6dbef, v151
	s_delay_alu instid0(VALU_DEP_2) | instskip(NEXT) | instid1(VALU_DEP_1)
	v_fmamk_f32 v193, v152, 0xbf52af12, v192
	v_dual_fmac_f32 v192, 0x3f52af12, v152 :: v_dual_add_f32 v61, v193, v61
	v_mul_f32_e32 v193, 0x3f7e222b, v166
	v_mul_f32_e32 v166, 0x3eedf032, v166
	s_delay_alu instid0(VALU_DEP_2) | instskip(NEXT) | instid1(VALU_DEP_1)
	v_fmamk_f32 v194, v67, 0x3df6dbef, v193
	v_add_f32_e32 v140, v194, v140
	v_mul_f32_e32 v194, 0x3df6dbef, v165
	v_fmac_f32_e32 v155, 0xbf6f5d39, v69
	s_delay_alu instid0(VALU_DEP_2) | instskip(NEXT) | instid1(VALU_DEP_1)
	v_fmamk_f32 v195, v69, 0xbf7e222b, v194
	v_dual_fmac_f32 v194, 0x3f7e222b, v69 :: v_dual_add_f32 v139, v195, v139
	v_mul_f32_e32 v195, 0xbf52af12, v168
	s_delay_alu instid0(VALU_DEP_2) | instskip(SKIP_1) | instid1(VALU_DEP_3)
	v_add_f32_e32 v72, v194, v72
	v_mul_f32_e32 v168, 0xbf29c268, v168
	v_fmamk_f32 v196, v141, 0x3f116cb1, v195
	s_delay_alu instid0(VALU_DEP_1) | instskip(SKIP_2) | instid1(VALU_DEP_2)
	v_add_f32_e32 v140, v196, v140
	v_mul_f32_e32 v196, 0x3f116cb1, v167
	v_mul_f32_e32 v167, 0xbf3f9e67, v167
	v_fmamk_f32 v197, v142, 0x3f52af12, v196
	v_fmac_f32_e32 v196, 0xbf52af12, v142
	v_mul_f32_e32 v165, 0x3f62ad3f, v165
	s_delay_alu instid0(VALU_DEP_3) | instskip(NEXT) | instid1(VALU_DEP_3)
	v_add_f32_e32 v139, v197, v139
	v_dual_mul_f32 v197, 0x3e750f2a, v126 :: v_dual_add_f32 v72, v196, v72
	v_mul_f32_e32 v126, 0x3f52af12, v126
	s_delay_alu instid0(VALU_DEP_2) | instskip(NEXT) | instid1(VALU_DEP_1)
	v_fmamk_f32 v198, v64, 0xbf788fa5, v197
	v_dual_fmac_f32 v157, 0xbe750f2a, v69 :: v_dual_add_f32 v140, v198, v140
	v_mul_f32_e32 v198, 0xbf788fa5, v125
	s_delay_alu instid0(VALU_DEP_2) | instskip(NEXT) | instid1(VALU_DEP_2)
	v_dual_mul_f32 v125, 0x3f116cb1, v125 :: v_dual_add_f32 v76, v157, v76
	v_fmamk_f32 v199, v65, 0xbe750f2a, v198
	s_delay_alu instid0(VALU_DEP_1) | instskip(SKIP_1) | instid1(VALU_DEP_2)
	v_dual_fmac_f32 v198, 0x3e750f2a, v65 :: v_dual_add_f32 v139, v199, v139
	v_mul_f32_e32 v199, 0x3eedf032, v163
	v_dual_mul_f32 v163, 0xbf6f5d39, v163 :: v_dual_add_f32 v72, v198, v72
	s_delay_alu instid0(VALU_DEP_2) | instskip(NEXT) | instid1(VALU_DEP_1)
	v_fmamk_f32 v200, v70, 0x3f62ad3f, v199
	v_add_f32_e32 v140, v200, v140
	v_mul_f32_e32 v200, 0x3f62ad3f, v164
	v_mul_f32_e32 v164, 0xbeb58ec6, v164
	s_delay_alu instid0(VALU_DEP_2) | instskip(SKIP_1) | instid1(VALU_DEP_2)
	v_fmamk_f32 v201, v71, 0xbeedf032, v200
	v_fmac_f32_e32 v200, 0x3eedf032, v71
	v_add_f32_e32 v201, v201, v139
	v_fmamk_f32 v139, v150, 0xbeb58ec6, v202
	s_delay_alu instid0(VALU_DEP_1) | instskip(NEXT) | instid1(VALU_DEP_1)
	v_dual_add_f32 v139, v139, v140 :: v_dual_fmamk_f32 v140, v152, 0x3f6f5d39, v203
	v_dual_fmac_f32 v203, 0xbf6f5d39, v152 :: v_dual_add_f32 v140, v140, v201
	v_fmamk_f32 v201, v67, 0x3f62ad3f, v166
	v_fma_f32 v166, 0x3f62ad3f, v67, -v166
	s_delay_alu instid0(VALU_DEP_2) | instskip(NEXT) | instid1(VALU_DEP_2)
	v_add_f32_e32 v83, v201, v83
	v_add_f32_e32 v81, v166, v81
	v_fmamk_f32 v201, v69, 0xbeedf032, v165
	v_fmac_f32_e32 v165, 0x3eedf032, v69
	v_fma_f32 v69, 0x3df6dbef, v141, -v154
	s_delay_alu instid0(VALU_DEP_3) | instskip(NEXT) | instid1(VALU_DEP_3)
	v_add_f32_e32 v82, v201, v82
	v_add_f32_e32 v80, v165, v80
	v_fma_f32 v165, 0xbf3f9e67, v141, -v168
	v_fmamk_f32 v201, v141, 0xbf3f9e67, v168
	s_delay_alu instid0(VALU_DEP_2) | instskip(NEXT) | instid1(VALU_DEP_2)
	v_add_f32_e32 v81, v165, v81
	v_add_f32_e32 v83, v201, v83
	v_fmamk_f32 v201, v142, 0x3f29c268, v167
	v_fmac_f32_e32 v167, 0xbf29c268, v142
	s_delay_alu instid0(VALU_DEP_2) | instskip(SKIP_1) | instid1(VALU_DEP_1)
	v_dual_add_f32 v82, v201, v82 :: v_dual_fmamk_f32 v201, v64, 0x3f116cb1, v126
	v_fma_f32 v126, 0x3f116cb1, v64, -v126
	v_dual_add_f32 v80, v167, v80 :: v_dual_add_f32 v81, v126, v81
	v_add_f32_e32 v126, v174, v63
	s_delay_alu instid0(VALU_DEP_4) | instskip(SKIP_2) | instid1(VALU_DEP_2)
	v_add_f32_e32 v83, v201, v83
	v_fmamk_f32 v201, v65, 0xbf52af12, v125
	v_fmac_f32_e32 v125, 0x3f52af12, v65
	v_dual_add_f32 v82, v201, v82 :: v_dual_add_nc_u32 v65, 0x2800, v127
	s_delay_alu instid0(VALU_DEP_2) | instskip(SKIP_1) | instid1(VALU_DEP_2)
	v_dual_fmamk_f32 v201, v70, 0xbeb58ec6, v163 :: v_dual_add_f32 v80, v125, v80
	v_fma_f32 v125, 0xbeb58ec6, v70, -v163
	v_add_f32_e32 v83, v201, v83
	v_fmamk_f32 v201, v71, 0x3f6f5d39, v164
	v_fmac_f32_e32 v164, 0xbf6f5d39, v71
	ds_store_2addr_b64 v68, v[60:61], v[139:140] offset0:4 offset1:5
	v_fma_f32 v60, 0xbeb58ec6, v67, -v175
	v_add_f32_e32 v61, v155, v78
	v_fma_f32 v78, 0xbf788fa5, v141, -v156
	v_dual_add_f32 v201, v201, v82 :: v_dual_fmamk_f32 v82, v150, 0x3df6dbef, v149
	s_delay_alu instid0(VALU_DEP_4) | instskip(SKIP_2) | instid1(VALU_DEP_4)
	v_dual_add_f32 v60, v60, v79 :: v_dual_add_f32 v81, v125, v81
	v_add_f32_e32 v125, v164, v80
	v_fma_f32 v80, 0x3df6dbef, v150, -v149
	v_add_f32_e32 v82, v82, v83
	s_delay_alu instid0(VALU_DEP_4)
	v_add_f32_e32 v60, v78, v60
	v_fma_f32 v78, 0xbf3f9e67, v64, -v177
	v_add_f32_e32 v61, v176, v61
	v_add_f32_e32 v80, v80, v81
	v_fmamk_f32 v83, v152, 0xbf7e222b, v151
	v_fmac_f32_e32 v151, 0x3f7e222b, v152
	v_add_f32_e32 v60, v78, v60
	v_fma_f32 v78, 0x3df6dbef, v70, -v179
	v_add_f32_e32 v61, v178, v61
	s_delay_alu instid0(VALU_DEP_2) | instskip(SKIP_1) | instid1(VALU_DEP_1)
	v_dual_add_f32 v81, v151, v125 :: v_dual_add_f32 v60, v78, v60
	v_fma_f32 v78, 0x3f62ad3f, v150, -v181
	v_dual_add_f32 v61, v180, v61 :: v_dual_add_f32 v60, v78, v60
	v_fma_f32 v78, 0xbf788fa5, v67, -v183
	s_delay_alu instid0(VALU_DEP_2) | instskip(NEXT) | instid1(VALU_DEP_2)
	v_add_f32_e32 v61, v182, v61
	v_add_f32_e32 v77, v78, v77
	v_fma_f32 v78, 0xbeb58ec6, v141, -v158
	s_delay_alu instid0(VALU_DEP_1) | instskip(SKIP_1) | instid1(VALU_DEP_1)
	v_add_f32_e32 v77, v78, v77
	v_fma_f32 v78, 0x3f62ad3f, v64, -v185
	v_dual_add_f32 v77, v78, v77 :: v_dual_add_f32 v76, v184, v76
	v_fma_f32 v78, 0x3f116cb1, v70, -v187
	s_delay_alu instid0(VALU_DEP_2) | instskip(NEXT) | instid1(VALU_DEP_1)
	v_add_f32_e32 v76, v186, v76
	v_dual_add_f32 v77, v78, v77 :: v_dual_add_f32 v78, v188, v76
	v_fma_f32 v76, 0xbf3f9e67, v150, -v189
	s_delay_alu instid0(VALU_DEP_1) | instskip(SKIP_1) | instid1(VALU_DEP_1)
	v_dual_add_f32 v76, v76, v77 :: v_dual_add_f32 v77, v190, v78
	v_fma_f32 v78, 0xbf3f9e67, v67, -v143
	v_add_f32_e32 v75, v78, v75
	v_fma_f32 v78, 0x3f62ad3f, v141, -v145
	s_delay_alu instid0(VALU_DEP_1) | instskip(SKIP_1) | instid1(VALU_DEP_1)
	v_add_f32_e32 v75, v78, v75
	v_fma_f32 v78, 0x3df6dbef, v64, -v147
	v_add_f32_e32 v75, v78, v75
	v_fma_f32 v78, 0xbf788fa5, v70, -v159
	s_delay_alu instid0(VALU_DEP_1) | instskip(SKIP_1) | instid1(VALU_DEP_1)
	v_dual_add_f32 v75, v78, v75 :: v_dual_add_f32 v78, v160, v74
	v_fma_f32 v74, 0x3f116cb1, v150, -v191
	v_dual_add_f32 v74, v74, v75 :: v_dual_add_f32 v75, v192, v78
	v_fma_f32 v78, 0x3df6dbef, v67, -v193
	v_fma_f32 v67, 0x3f116cb1, v67, -v161
	s_delay_alu instid0(VALU_DEP_2) | instskip(SKIP_1) | instid1(VALU_DEP_3)
	v_add_f32_e32 v73, v78, v73
	v_fma_f32 v78, 0x3f116cb1, v141, -v195
	v_dual_add_f32 v62, v67, v62 :: v_dual_add_nc_u32 v67, 0x1400, v127
	s_delay_alu instid0(VALU_DEP_2) | instskip(SKIP_2) | instid1(VALU_DEP_2)
	v_add_f32_e32 v73, v78, v73
	v_fma_f32 v78, 0xbf788fa5, v64, -v197
	v_fma_f32 v64, 0xbeb58ec6, v64, -v169
	v_dual_add_f32 v62, v69, v62 :: v_dual_add_f32 v73, v78, v73
	v_fma_f32 v78, 0x3f62ad3f, v70, -v199
	s_delay_alu instid0(VALU_DEP_2) | instskip(SKIP_1) | instid1(VALU_DEP_3)
	v_add_f32_e32 v62, v64, v62
	v_fma_f32 v64, 0xbf3f9e67, v70, -v171
	v_dual_add_f32 v73, v78, v73 :: v_dual_add_f32 v78, v200, v72
	s_delay_alu instid0(VALU_DEP_2) | instskip(SKIP_2) | instid1(VALU_DEP_2)
	v_add_f32_e32 v62, v64, v62
	v_fma_f32 v64, 0xbf788fa5, v150, -v173
	v_fma_f32 v72, 0xbeb58ec6, v150, -v202
	v_dual_add_f32 v125, v64, v62 :: v_dual_add_nc_u32 v64, 0x1e00, v127
	v_add_f32_e32 v83, v83, v201
	s_delay_alu instid0(VALU_DEP_3)
	v_dual_add_f32 v72, v72, v73 :: v_dual_add_f32 v73, v203, v78
	ds_store_2addr_b64 v68, v[82:83], v[80:81] offset0:6 offset1:7
	ds_store_2addr_b64 v68, v[72:73], v[74:75] offset0:8 offset1:9
	;; [unrolled: 1-line block ×3, first 2 shown]
	ds_store_b64 v68, v[125:126] offset:96
	v_add_nc_u32_e32 v72, 0x3400, v127
	global_wb scope:SCOPE_SE
	s_wait_dscnt 0x0
	s_barrier_signal -1
	s_barrier_wait -1
	global_inv scope:SCOPE_SE
	ds_load_2addr_b64 v[60:63], v66 offset0:56 offset1:251
	ds_load_2addr_b64 v[80:83], v64 offset0:54 offset1:210
	;; [unrolled: 1-line block ×5, first 2 shown]
	ds_load_2addr_b64 v[64:67], v127 offset1:156
	s_and_saveexec_b32 s1, vcc_lo
	s_cbranch_execz .LBB0_11
; %bb.10:
	ds_load_b64 v[125:126], v127 offset:3744
	ds_load_b64 v[123:124], v127 offset:7800
	;; [unrolled: 1-line block ×4, first 2 shown]
.LBB0_11:
	s_wait_alu 0xfffe
	s_or_b32 exec_lo, exec_lo, s1
	s_wait_dscnt 0x4
	v_dual_mul_f32 v139, v17, v63 :: v_dual_mul_f32 v140, v19, v81
	v_mul_f32_e32 v17, v17, v62
	v_mul_f32_e32 v19, v19, v80
	s_wait_dscnt 0x3
	v_mul_f32_e32 v141, v118, v71
	v_dual_fmac_f32 v139, v16, v62 :: v_dual_mul_f32 v62, v15, v83
	v_fmac_f32_e32 v140, v18, v80
	v_fma_f32 v16, v16, v63, -v17
	v_fma_f32 v17, v18, v81, -v19
	s_wait_dscnt 0x2
	v_dual_mul_f32 v18, v118, v70 :: v_dual_mul_f32 v19, v13, v77
	v_dual_fmac_f32 v62, v14, v82 :: v_dual_mul_f32 v13, v13, v76
	v_mul_f32_e32 v15, v15, v82
	s_delay_alu instid0(VALU_DEP_3) | instskip(NEXT) | instid1(VALU_DEP_4)
	v_fma_f32 v18, v117, v71, -v18
	v_fmac_f32_e32 v19, v12, v76
	v_mul_f32_e32 v71, v7, v69
	v_fma_f32 v63, v12, v77, -v13
	s_wait_dscnt 0x1
	v_dual_mul_f32 v12, v116, v73 :: v_dual_fmac_f32 v141, v117, v70
	v_mul_f32_e32 v70, v5, v79
	v_mul_f32_e32 v5, v5, v78
	v_fma_f32 v13, v14, v83, -v15
	s_delay_alu instid0(VALU_DEP_4)
	v_fmac_f32_e32 v12, v115, v72
	v_mul_f32_e32 v14, v116, v72
	v_fmac_f32_e32 v70, v4, v78
	v_fma_f32 v72, v4, v79, -v5
	v_fmac_f32_e32 v71, v6, v68
	v_dual_mul_f32 v4, v7, v68 :: v_dual_mul_f32 v7, v114, v75
	v_dual_mul_f32 v5, v114, v74 :: v_dual_mul_f32 v68, v1, v124
	v_dual_mul_f32 v1, v1, v123 :: v_dual_sub_f32 v18, v16, v18
	s_wait_dscnt 0x0
	v_sub_f32_e32 v15, v64, v140
	v_fma_f32 v14, v115, v73, -v14
	v_fma_f32 v73, v113, v75, -v5
	v_fmac_f32_e32 v68, v0, v123
	v_fma_f32 v0, v0, v124, -v1
	v_mul_f32_e32 v1, v3, v122
	v_fma_f32 v5, v64, 2.0, -v15
	v_mul_f32_e32 v64, v3, v121
	v_fma_f32 v69, v6, v69, -v4
	v_fma_f32 v16, v16, 2.0, -v18
	v_fmac_f32_e32 v1, v2, v121
	v_sub_f32_e32 v77, v67, v13
	v_fma_f32 v2, v2, v122, -v64
	v_dual_sub_f32 v64, v66, v62 :: v_dual_sub_f32 v17, v65, v17
	v_dual_sub_f32 v62, v63, v14 :: v_dual_mul_f32 v75, v112, v120
	v_sub_f32_e32 v71, v60, v71
	v_sub_f32_e32 v69, v61, v69
	s_delay_alu instid0(VALU_DEP_4) | instskip(SKIP_4) | instid1(VALU_DEP_4)
	v_fma_f32 v6, v65, 2.0, -v17
	v_dual_fmac_f32 v7, v113, v74 :: v_dual_sub_f32 v74, v139, v141
	v_dual_mul_f32 v65, v112, v119 :: v_dual_sub_f32 v2, v126, v2
	v_fma_f32 v63, v63, 2.0, -v62
	v_add_f32_e32 v62, v64, v62
	v_fma_f32 v4, v139, 2.0, -v74
	s_delay_alu instid0(VALU_DEP_4)
	v_fma_f32 v76, v111, v120, -v65
	v_sub_f32_e32 v65, v19, v12
	v_add_f32_e32 v12, v15, v18
	v_fma_f32 v18, v66, 2.0, -v64
	v_sub_f32_e32 v3, v5, v4
	v_sub_f32_e32 v4, v6, v16
	v_fma_f32 v16, v19, 2.0, -v65
	v_fma_f32 v19, v67, 2.0, -v77
	v_sub_f32_e32 v7, v70, v7
	v_sub_f32_e32 v67, v72, v73
	v_fma_f32 v66, v60, 2.0, -v71
	v_sub_f32_e32 v73, v0, v76
	v_sub_f32_e32 v13, v17, v74
	v_fma_f32 v60, v70, 2.0, -v7
	v_add_f32_e32 v74, v71, v67
	v_fma_f32 v70, v61, 2.0, -v69
	v_fma_f32 v61, v72, 2.0, -v67
	v_dual_sub_f32 v72, v125, v1 :: v_dual_fmac_f32 v75, v111, v119
	v_fma_f32 v79, v126, 2.0, -v2
	v_fma_f32 v0, v0, 2.0, -v73
	s_delay_alu instid0(VALU_DEP_4) | instskip(NEXT) | instid1(VALU_DEP_4)
	v_sub_f32_e32 v61, v70, v61
	v_fma_f32 v78, v125, 2.0, -v72
	v_sub_f32_e32 v1, v68, v75
	v_fma_f32 v14, v15, 2.0, -v12
	v_fma_f32 v15, v17, 2.0, -v13
	v_sub_f32_e32 v17, v19, v63
	v_fma_f32 v67, v70, 2.0, -v61
	v_fma_f32 v68, v68, 2.0, -v1
	v_sub_f32_e32 v75, v69, v7
	v_fma_f32 v76, v71, 2.0, -v74
	v_dual_sub_f32 v71, v79, v0 :: v_dual_add_f32 v0, v72, v73
	s_delay_alu instid0(VALU_DEP_4)
	v_dual_sub_f32 v70, v78, v68 :: v_dual_sub_f32 v63, v77, v65
	v_sub_f32_e32 v1, v2, v1
	v_sub_f32_e32 v16, v18, v16
	;; [unrolled: 1-line block ×3, first 2 shown]
	v_fma_f32 v5, v5, 2.0, -v3
	v_fma_f32 v6, v6, 2.0, -v4
	;; [unrolled: 1-line block ×12, first 2 shown]
	global_wb scope:SCOPE_SE
	s_barrier_signal -1
	s_barrier_wait -1
	global_inv scope:SCOPE_SE
	ds_store_2addr_b64 v133, v[5:6], v[14:15] offset1:13
	ds_store_2addr_b64 v133, v[3:4], v[12:13] offset0:26 offset1:39
	ds_store_2addr_b64 v132, v[18:19], v[64:65] offset1:13
	ds_store_2addr_b64 v132, v[16:17], v[62:63] offset0:26 offset1:39
	ds_store_2addr_b64 v131, v[66:67], v[76:77] offset1:13
	ds_store_2addr_b64 v131, v[60:61], v[74:75] offset0:26 offset1:39
	s_and_saveexec_b32 s1, vcc_lo
	s_cbranch_execz .LBB0_13
; %bb.12:
	v_mad_u16 v2, v129, 52, v130
	s_delay_alu instid0(VALU_DEP_1) | instskip(NEXT) | instid1(VALU_DEP_1)
	v_and_b32_e32 v2, 0xffff, v2
	v_lshlrev_b32_e32 v2, 3, v2
	ds_store_2addr_b64 v2, v[68:69], v[72:73] offset1:13
	ds_store_2addr_b64 v2, v[70:71], v[0:1] offset0:26 offset1:39
.LBB0_13:
	s_wait_alu 0xfffe
	s_or_b32 exec_lo, exec_lo, s1
	v_add_nc_u32_e32 v4, 0x1400, v127
	v_add_nc_u32_e32 v5, 0x2800, v127
	v_add_nc_u32_e32 v6, 0x800, v127
	v_add_nc_u32_e32 v12, 0x1c00, v127
	v_add_nc_u32_e32 v13, 0x3400, v127
	global_wb scope:SCOPE_SE
	s_wait_dscnt 0x0
	s_barrier_signal -1
	s_barrier_wait -1
	global_inv scope:SCOPE_SE
	ds_load_2addr_b64 v[0:3], v127 offset1:156
	ds_load_2addr_b64 v[64:67], v4 offset0:36 offset1:192
	ds_load_2addr_b64 v[60:63], v5 offset0:72 offset1:228
	;; [unrolled: 1-line block ×4, first 2 shown]
	ds_load_2addr_b64 v[12:15], v13 offset1:156
	s_and_saveexec_b32 s1, s0
	s_cbranch_execz .LBB0_15
; %bb.14:
	ds_load_b64 v[68:69], v127 offset:4992
	ds_load_b64 v[72:73], v127 offset:10400
	;; [unrolled: 1-line block ×3, first 2 shown]
.LBB0_15:
	s_wait_alu 0xfffe
	s_or_b32 exec_lo, exec_lo, s1
	s_wait_dscnt 0x4
	v_mul_f32_e32 v74, v41, v65
	v_mul_f32_e32 v41, v41, v64
	s_wait_dscnt 0x3
	v_mul_f32_e32 v75, v43, v61
	v_mul_f32_e32 v43, v43, v60
	global_wb scope:SCOPE_SE
	s_wait_dscnt 0x0
	v_fmac_f32_e32 v74, v40, v64
	v_fma_f32 v40, v40, v65, -v41
	v_mul_f32_e32 v41, v37, v67
	v_fmac_f32_e32 v75, v42, v60
	v_mul_f32_e32 v37, v37, v66
	v_fma_f32 v42, v42, v61, -v43
	v_mul_f32_e32 v43, v39, v63
	v_mul_f32_e32 v39, v39, v62
	v_fmac_f32_e32 v41, v36, v66
	v_fma_f32 v36, v36, v67, -v37
	v_mul_f32_e32 v37, v25, v17
	v_fmac_f32_e32 v43, v38, v62
	v_fma_f32 v38, v38, v63, -v39
	v_mul_f32_e32 v39, v27, v13
	v_mul_f32_e32 v25, v25, v16
	v_fmac_f32_e32 v37, v24, v16
	v_mul_f32_e32 v16, v27, v12
	s_barrier_signal -1
	v_dual_fmac_f32 v39, v26, v12 :: v_dual_mul_f32 v12, v21, v18
	v_fma_f32 v24, v24, v17, -v25
	v_mul_f32_e32 v25, v21, v19
	v_fma_f32 v21, v26, v13, -v16
	v_mul_f32_e32 v26, v23, v15
	v_fma_f32 v27, v20, v19, -v12
	v_sub_f32_e32 v19, v36, v38
	v_dual_mul_f32 v13, v23, v14 :: v_dual_add_f32 v12, v74, v75
	s_delay_alu instid0(VALU_DEP_4) | instskip(SKIP_2) | instid1(VALU_DEP_4)
	v_fmac_f32_e32 v26, v22, v14
	v_add_f32_e32 v14, v0, v74
	v_add_f32_e32 v16, v1, v40
	v_fma_f32 v60, v22, v15, -v13
	v_add_f32_e32 v13, v40, v42
	v_fma_f32 v0, -0.5, v12, v0
	v_sub_f32_e32 v15, v40, v42
	v_sub_f32_e32 v17, v74, v75
	v_add_f32_e32 v12, v14, v75
	v_fma_f32 v1, -0.5, v13, v1
	s_barrier_wait -1
	v_dual_fmamk_f32 v14, v15, 0xbf5db3d7, v0 :: v_dual_fmac_f32 v25, v20, v18
	s_delay_alu instid0(VALU_DEP_2)
	v_dual_fmac_f32 v0, 0x3f5db3d7, v15 :: v_dual_fmamk_f32 v15, v17, 0x3f5db3d7, v1
	v_add_f32_e32 v18, v2, v41
	v_add_f32_e32 v20, v3, v36
	v_dual_sub_f32 v22, v41, v43 :: v_dual_fmac_f32 v1, 0xbf5db3d7, v17
	v_add_f32_e32 v17, v36, v38
	v_add_f32_e32 v23, v4, v37
	v_dual_add_f32 v13, v16, v42 :: v_dual_add_f32 v16, v41, v43
	v_sub_f32_e32 v36, v24, v21
	s_delay_alu instid0(VALU_DEP_4) | instskip(SKIP_1) | instid1(VALU_DEP_4)
	v_fmac_f32_e32 v3, -0.5, v17
	v_dual_add_f32 v17, v20, v38 :: v_dual_add_f32 v20, v37, v39
	v_fma_f32 v2, -0.5, v16, v2
	v_add_f32_e32 v16, v18, v43
	v_sub_f32_e32 v38, v25, v26
	global_inv scope:SCOPE_SE
	v_fma_f32 v4, -0.5, v20, v4
	v_fmamk_f32 v18, v19, 0xbf5db3d7, v2
	v_dual_fmac_f32 v2, 0x3f5db3d7, v19 :: v_dual_fmamk_f32 v19, v22, 0x3f5db3d7, v3
	v_dual_fmac_f32 v3, 0xbf5db3d7, v22 :: v_dual_add_f32 v22, v24, v21
	v_dual_add_f32 v20, v23, v39 :: v_dual_add_f32 v23, v5, v24
	v_dual_sub_f32 v24, v37, v39 :: v_dual_add_f32 v37, v6, v25
	s_delay_alu instid0(VALU_DEP_3) | instskip(SKIP_3) | instid1(VALU_DEP_1)
	v_fma_f32 v5, -0.5, v22, v5
	v_fmamk_f32 v22, v36, 0xbf5db3d7, v4
	v_fmac_f32_e32 v4, 0x3f5db3d7, v36
	v_dual_add_f32 v36, v25, v26 :: v_dual_add_f32 v21, v23, v21
	v_fma_f32 v6, -0.5, v36, v6
	v_dual_sub_f32 v36, v27, v60 :: v_dual_fmamk_f32 v23, v24, 0x3f5db3d7, v5
	v_fmac_f32_e32 v5, 0xbf5db3d7, v24
	v_add_f32_e32 v24, v27, v60
	v_add_f32_e32 v27, v7, v27
	s_delay_alu instid0(VALU_DEP_2) | instskip(SKIP_2) | instid1(VALU_DEP_4)
	v_dual_fmac_f32 v7, -0.5, v24 :: v_dual_add_f32 v24, v37, v26
	v_fmamk_f32 v26, v36, 0xbf5db3d7, v6
	v_fmac_f32_e32 v6, 0x3f5db3d7, v36
	v_add_f32_e32 v25, v27, v60
	s_delay_alu instid0(VALU_DEP_4)
	v_fmamk_f32 v27, v38, 0x3f5db3d7, v7
	v_fmac_f32_e32 v7, 0xbf5db3d7, v38
	ds_store_2addr_b64 v137, v[12:13], v[14:15] offset1:52
	ds_store_b64 v137, v[0:1] offset:832
	ds_store_2addr_b64 v136, v[16:17], v[18:19] offset1:52
	ds_store_b64 v136, v[2:3] offset:832
	;; [unrolled: 2-line block ×4, first 2 shown]
	s_and_saveexec_b32 s1, s0
	s_cbranch_execz .LBB0_17
; %bb.16:
	v_dual_mul_f32 v0, v9, v72 :: v_dual_mul_f32 v1, v11, v70
	s_delay_alu instid0(VALU_DEP_1) | instskip(SKIP_1) | instid1(VALU_DEP_3)
	v_fma_f32 v0, v8, v73, -v0
	v_mul_f32_e32 v6, v11, v71
	v_fma_f32 v3, v10, v71, -v1
	v_dual_mul_f32 v2, v9, v73 :: v_dual_lshlrev_b32 v9, 3, v138
	s_delay_alu instid0(VALU_DEP_3) | instskip(NEXT) | instid1(VALU_DEP_3)
	v_dual_add_f32 v5, v0, v69 :: v_dual_fmac_f32 v6, v10, v70
	v_add_f32_e32 v1, v3, v0
	s_delay_alu instid0(VALU_DEP_3) | instskip(NEXT) | instid1(VALU_DEP_3)
	v_fmac_f32_e32 v2, v8, v72
	v_dual_sub_f32 v8, v0, v3 :: v_dual_add_f32 v3, v3, v5
	s_delay_alu instid0(VALU_DEP_3) | instskip(NEXT) | instid1(VALU_DEP_3)
	v_fma_f32 v1, -0.5, v1, v69
	v_sub_f32_e32 v7, v2, v6
	s_delay_alu instid0(VALU_DEP_1) | instskip(NEXT) | instid1(VALU_DEP_1)
	v_dual_add_f32 v4, v6, v2 :: v_dual_fmamk_f32 v5, v7, 0xbf5db3d7, v1
	v_fma_f32 v0, -0.5, v4, v68
	s_delay_alu instid0(VALU_DEP_1) | instskip(SKIP_2) | instid1(VALU_DEP_2)
	v_fmamk_f32 v4, v8, 0x3f5db3d7, v0
	v_dual_add_f32 v2, v68, v2 :: v_dual_fmac_f32 v1, 0x3f5db3d7, v7
	v_fmac_f32_e32 v0, 0xbf5db3d7, v8
	v_add_f32_e32 v2, v6, v2
	v_add_nc_u32_e32 v6, 0x3800, v9
	ds_store_2addr_b64 v6, v[2:3], v[0:1] offset0:80 offset1:132
	ds_store_b64 v9, v[4:5] offset:15808
.LBB0_17:
	s_wait_alu 0xfffe
	s_or_b32 exec_lo, exec_lo, s1
	global_wb scope:SCOPE_SE
	s_wait_dscnt 0x0
	s_barrier_signal -1
	s_barrier_wait -1
	global_inv scope:SCOPE_SE
	ds_load_2addr_b64 v[13:16], v127 offset1:156
	v_add_nc_u32_e32 v6, 0x800, v127
	v_add_nc_u32_e32 v5, 0x1200, v127
	s_mov_b32 s0, 0xfc7729e9
	s_mov_b32 s1, 0x3f402864
	s_wait_dscnt 0x0
	v_mul_f32_e32 v25, v49, v16
	ds_load_2addr_b64 v[7:10], v6 offset0:56 offset1:212
	ds_load_2addr_b64 v[17:20], v5 offset0:48 offset1:204
	v_add_nc_u32_e32 v4, 0x1c00, v127
	v_add_nc_u32_e32 v3, 0x2400, v127
	;; [unrolled: 1-line block ×3, first 2 shown]
	ds_load_b64 v[0:1], v127 offset:14976
	s_wait_dscnt 0x2
	v_mul_f32_e32 v26, v45, v10
	v_mul_f32_e32 v27, v45, v9
	s_wait_dscnt 0x1
	v_mul_f32_e32 v45, v47, v18
	ds_load_2addr_b64 v[21:24], v4 offset0:40 offset1:196
	ds_load_2addr_b64 v[36:39], v3 offset0:96 offset1:252
	;; [unrolled: 1-line block ×3, first 2 shown]
	v_dual_mul_f32 v11, v49, v15 :: v_dual_fmac_f32 v26, v44, v9
	v_mul_f32_e32 v12, v51, v7
	v_fmac_f32_e32 v25, v48, v15
	v_fma_f32 v27, v44, v10, -v27
	s_delay_alu instid0(VALU_DEP_4) | instskip(SKIP_4) | instid1(VALU_DEP_4)
	v_fma_f32 v15, v48, v16, -v11
	v_mul_f32_e32 v16, v51, v8
	v_mul_f32_e32 v11, v33, v20
	v_fma_f32 v48, v50, v8, -v12
	v_dual_mul_f32 v8, v33, v19 :: v_dual_fmac_f32 v45, v46, v17
	v_dual_mul_f32 v47, v47, v17 :: v_dual_fmac_f32 v16, v50, v7
	s_delay_alu instid0(VALU_DEP_2) | instskip(NEXT) | instid1(VALU_DEP_2)
	v_fma_f32 v12, v32, v20, -v8
	v_fma_f32 v17, v46, v18, -v47
	s_wait_dscnt 0x2
	v_dual_mul_f32 v8, v29, v24 :: v_dual_fmac_f32 v11, v32, v19
	v_dual_add_f32 v10, v13, v25 :: v_dual_mul_f32 v7, v35, v22
	v_dual_add_f32 v18, v14, v15 :: v_dual_mul_f32 v9, v35, v21
	s_delay_alu instid0(VALU_DEP_2) | instskip(NEXT) | instid1(VALU_DEP_3)
	v_dual_mul_f32 v19, v29, v23 :: v_dual_add_f32 v10, v10, v16
	v_dual_fmac_f32 v7, v34, v21 :: v_dual_fmac_f32 v8, v28, v23
	s_delay_alu instid0(VALU_DEP_3) | instskip(SKIP_1) | instid1(VALU_DEP_3)
	v_add_f32_e32 v18, v18, v48
	s_wait_dscnt 0x1
	v_dual_mul_f32 v20, v31, v37 :: v_dual_add_f32 v21, v10, v26
	v_fma_f32 v9, v34, v22, -v9
	v_fma_f32 v10, v28, v24, -v19
	v_dual_add_f32 v18, v18, v27 :: v_dual_mul_f32 v19, v31, v36
	s_delay_alu instid0(VALU_DEP_4) | instskip(NEXT) | instid1(VALU_DEP_2)
	v_dual_fmac_f32 v20, v30, v36 :: v_dual_add_f32 v21, v21, v45
	v_dual_mul_f32 v23, v57, v38 :: v_dual_add_f32 v18, v18, v17
	s_wait_dscnt 0x0
	v_dual_mul_f32 v24, v59, v41 :: v_dual_mul_f32 v29, v53, v43
	v_mul_f32_e32 v22, v57, v39
	s_delay_alu instid0(VALU_DEP_3) | instskip(NEXT) | instid1(VALU_DEP_3)
	v_dual_add_f32 v21, v21, v11 :: v_dual_add_f32 v18, v18, v12
	v_dual_fmac_f32 v24, v58, v40 :: v_dual_mul_f32 v31, v55, v1
	s_delay_alu instid0(VALU_DEP_4) | instskip(NEXT) | instid1(VALU_DEP_3)
	v_fmac_f32_e32 v29, v52, v42
	v_dual_fmac_f32 v22, v56, v38 :: v_dual_add_f32 v21, v21, v7
	s_delay_alu instid0(VALU_DEP_4) | instskip(SKIP_3) | instid1(VALU_DEP_4)
	v_add_f32_e32 v18, v18, v9
	v_fma_f32 v19, v30, v37, -v19
	v_fmac_f32_e32 v31, v54, v0
	v_mul_f32_e32 v30, v55, v0
	v_dual_add_f32 v21, v21, v8 :: v_dual_add_f32 v18, v18, v10
	v_fma_f32 v23, v56, v39, -v23
	s_delay_alu instid0(VALU_DEP_2) | instskip(NEXT) | instid1(VALU_DEP_1)
	v_dual_add_f32 v56, v16, v29 :: v_dual_add_f32 v21, v21, v20
	v_dual_mul_f32 v28, v59, v40 :: v_dual_add_f32 v21, v21, v22
	s_delay_alu instid0(VALU_DEP_1) | instskip(NEXT) | instid1(VALU_DEP_2)
	v_fma_f32 v28, v58, v41, -v28
	v_add_f32_e32 v0, v21, v24
	v_add_f32_e32 v21, v25, v31
	v_fma_f32 v1, v54, v1, -v30
	v_mul_f32_e32 v30, v53, v42
	s_delay_alu instid0(VALU_DEP_2) | instskip(SKIP_2) | instid1(VALU_DEP_4)
	v_sub_f32_e32 v32, v15, v1
	v_dual_add_f32 v15, v15, v1 :: v_dual_add_f32 v18, v18, v19
	v_sub_f32_e32 v25, v25, v31
	v_fma_f32 v30, v52, v43, -v30
	s_delay_alu instid0(VALU_DEP_4) | instskip(NEXT) | instid1(VALU_DEP_4)
	v_mul_f32_e32 v33, 0xbeedf032, v32
	v_mul_f32_e32 v35, 0x3f62ad3f, v15
	v_add_f32_e32 v18, v18, v23
	v_dual_add_f32 v0, v0, v29 :: v_dual_mul_f32 v49, 0xbf29c268, v32
	v_mul_f32_e32 v50, 0xbf3f9e67, v15
	s_delay_alu instid0(VALU_DEP_2) | instskip(NEXT) | instid1(VALU_DEP_4)
	v_dual_add_f32 v0, v0, v31 :: v_dual_fmamk_f32 v31, v25, 0x3eedf032, v35
	v_dual_add_f32 v18, v18, v28 :: v_dual_fmac_f32 v35, 0xbeedf032, v25
	s_delay_alu instid0(VALU_DEP_4) | instskip(SKIP_2) | instid1(VALU_DEP_4)
	v_fmamk_f32 v51, v21, 0xbf3f9e67, v49
	v_fma_f32 v49, 0xbf3f9e67, v21, -v49
	v_mul_f32_e32 v46, 0xbeb58ec6, v15
	v_add_f32_e32 v18, v18, v30
	v_dual_fmamk_f32 v34, v21, 0x3f62ad3f, v33 :: v_dual_add_f32 v35, v14, v35
	s_delay_alu instid0(VALU_DEP_4) | instskip(SKIP_1) | instid1(VALU_DEP_3)
	v_add_f32_e32 v49, v13, v49
	v_fma_f32 v33, 0x3f62ad3f, v21, -v33
	v_dual_add_f32 v1, v18, v1 :: v_dual_add_f32 v18, v13, v34
	v_dual_add_f32 v31, v14, v31 :: v_dual_mul_f32 v34, 0xbf52af12, v32
	s_delay_alu instid0(VALU_DEP_3)
	v_add_f32_e32 v33, v13, v33
	v_fmamk_f32 v47, v25, 0x3f6f5d39, v46
	v_mul_f32_e32 v42, 0xbf6f5d39, v32
	v_dual_fmac_f32 v46, 0xbf6f5d39, v25 :: v_dual_add_f32 v51, v13, v51
	v_fmamk_f32 v37, v21, 0x3f116cb1, v34
	v_fma_f32 v34, 0x3f116cb1, v21, -v34
	v_mul_f32_e32 v41, 0x3df6dbef, v15
	v_mul_f32_e32 v36, 0x3f116cb1, v15
	v_add_f32_e32 v47, v14, v47
	v_add_f32_e32 v37, v13, v37
	;; [unrolled: 1-line block ×3, first 2 shown]
	v_dual_fmamk_f32 v43, v25, 0x3f7e222b, v41 :: v_dual_add_f32 v46, v14, v46
	v_fmamk_f32 v38, v25, 0x3f52af12, v36
	v_fmac_f32_e32 v41, 0xbf7e222b, v25
	s_delay_alu instid0(VALU_DEP_3) | instskip(NEXT) | instid1(VALU_DEP_3)
	v_dual_fmamk_f32 v44, v21, 0xbeb58ec6, v42 :: v_dual_add_f32 v43, v14, v43
	v_dual_mul_f32 v39, 0xbf7e222b, v32 :: v_dual_add_f32 v38, v14, v38
	v_fmamk_f32 v52, v25, 0x3f29c268, v50
	v_mul_f32_e32 v32, 0xbe750f2a, v32
	s_delay_alu instid0(VALU_DEP_4) | instskip(NEXT) | instid1(VALU_DEP_4)
	v_add_f32_e32 v44, v13, v44
	v_dual_fmamk_f32 v40, v21, 0x3df6dbef, v39 :: v_dual_add_f32 v41, v14, v41
	v_fma_f32 v39, 0x3df6dbef, v21, -v39
	v_fmac_f32_e32 v36, 0xbf52af12, v25
	v_dual_add_f32 v52, v14, v52 :: v_dual_fmamk_f32 v53, v21, 0xbf788fa5, v32
	s_delay_alu instid0(VALU_DEP_4) | instskip(NEXT) | instid1(VALU_DEP_3)
	v_dual_add_f32 v40, v13, v40 :: v_dual_mul_f32 v15, 0xbf788fa5, v15
	v_dual_add_f32 v39, v13, v39 :: v_dual_add_f32 v36, v14, v36
	v_sub_f32_e32 v54, v48, v30
	v_fma_f32 v42, 0xbeb58ec6, v21, -v42
	s_delay_alu instid0(VALU_DEP_4)
	v_fmamk_f32 v55, v25, 0x3e750f2a, v15
	v_fmac_f32_e32 v50, 0xbf29c268, v25
	v_add_f32_e32 v53, v13, v53
	v_mul_f32_e32 v57, 0xbf52af12, v54
	v_fma_f32 v21, 0xbf788fa5, v21, -v32
	v_add_f32_e32 v30, v48, v30
	v_add_f32_e32 v42, v13, v42
	v_dual_add_f32 v50, v14, v50 :: v_dual_fmac_f32 v15, 0xbe750f2a, v25
	v_dual_fmamk_f32 v25, v56, 0x3f116cb1, v57 :: v_dual_add_f32 v32, v14, v55
	v_add_f32_e32 v13, v13, v21
	v_dual_sub_f32 v16, v16, v29 :: v_dual_mul_f32 v29, 0x3f116cb1, v30
	s_delay_alu instid0(VALU_DEP_4) | instskip(NEXT) | instid1(VALU_DEP_4)
	v_dual_add_f32 v14, v14, v15 :: v_dual_mul_f32 v21, 0xbf6f5d39, v54
	v_add_f32_e32 v15, v25, v18
	v_fma_f32 v25, 0x3f116cb1, v56, -v57
	s_delay_alu instid0(VALU_DEP_4) | instskip(SKIP_1) | instid1(VALU_DEP_3)
	v_fmamk_f32 v18, v16, 0x3f52af12, v29
	v_mul_f32_e32 v55, 0xbf3f9e67, v30
	v_add_f32_e32 v25, v25, v33
	s_delay_alu instid0(VALU_DEP_3) | instskip(SKIP_2) | instid1(VALU_DEP_3)
	v_dual_fmac_f32 v29, 0xbf52af12, v16 :: v_dual_add_f32 v18, v18, v31
	v_dual_mul_f32 v48, 0xbeb58ec6, v30 :: v_dual_fmamk_f32 v31, v56, 0xbeb58ec6, v21
	v_fma_f32 v21, 0xbeb58ec6, v56, -v21
	v_add_f32_e32 v29, v29, v35
	s_delay_alu instid0(VALU_DEP_3) | instskip(NEXT) | instid1(VALU_DEP_4)
	v_fmamk_f32 v33, v16, 0x3f6f5d39, v48
	v_dual_fmac_f32 v48, 0xbf6f5d39, v16 :: v_dual_add_f32 v31, v31, v37
	s_delay_alu instid0(VALU_DEP_4) | instskip(NEXT) | instid1(VALU_DEP_3)
	v_add_f32_e32 v21, v21, v34
	v_add_f32_e32 v33, v33, v38
	s_delay_alu instid0(VALU_DEP_3) | instskip(NEXT) | instid1(VALU_DEP_1)
	v_dual_mul_f32 v35, 0xbe750f2a, v54 :: v_dual_add_f32 v34, v48, v36
	v_dual_mul_f32 v38, 0xbf788fa5, v30 :: v_dual_fmamk_f32 v37, v56, 0xbf788fa5, v35
	v_mul_f32_e32 v36, 0x3f29c268, v54
	v_fma_f32 v35, 0xbf788fa5, v56, -v35
	s_delay_alu instid0(VALU_DEP_3) | instskip(NEXT) | instid1(VALU_DEP_2)
	v_dual_add_f32 v37, v37, v40 :: v_dual_fmamk_f32 v40, v16, 0x3e750f2a, v38
	v_dual_fmac_f32 v38, 0xbe750f2a, v16 :: v_dual_add_f32 v35, v35, v39
	s_delay_alu instid0(VALU_DEP_4) | instskip(SKIP_1) | instid1(VALU_DEP_4)
	v_fmamk_f32 v48, v56, 0xbf3f9e67, v36
	v_fma_f32 v36, 0xbf3f9e67, v56, -v36
	v_dual_add_f32 v40, v40, v43 :: v_dual_mul_f32 v43, 0x3f7e222b, v54
	s_delay_alu instid0(VALU_DEP_3) | instskip(SKIP_4) | instid1(VALU_DEP_4)
	v_dual_add_f32 v38, v38, v41 :: v_dual_add_f32 v39, v48, v44
	v_mul_f32_e32 v44, 0x3df6dbef, v30
	v_fmamk_f32 v41, v16, 0xbf29c268, v55
	v_dual_fmac_f32 v55, 0x3f29c268, v16 :: v_dual_add_f32 v36, v36, v42
	v_mul_f32_e32 v30, 0x3f62ad3f, v30
	v_fmamk_f32 v42, v16, 0xbf7e222b, v44
	s_delay_alu instid0(VALU_DEP_3) | instskip(NEXT) | instid1(VALU_DEP_2)
	v_dual_add_f32 v46, v55, v46 :: v_dual_add_f32 v41, v41, v47
	v_dual_fmamk_f32 v47, v56, 0x3df6dbef, v43 :: v_dual_add_f32 v42, v42, v52
	v_mul_f32_e32 v48, 0x3eedf032, v54
	v_fma_f32 v43, 0x3df6dbef, v56, -v43
	s_delay_alu instid0(VALU_DEP_3) | instskip(NEXT) | instid1(VALU_DEP_3)
	v_dual_fmac_f32 v44, 0x3f7e222b, v16 :: v_dual_add_f32 v47, v47, v51
	v_fmamk_f32 v51, v56, 0x3f62ad3f, v48
	s_delay_alu instid0(VALU_DEP_3) | instskip(NEXT) | instid1(VALU_DEP_3)
	v_add_f32_e32 v43, v43, v49
	v_dual_sub_f32 v49, v27, v28 :: v_dual_add_f32 v44, v44, v50
	v_add_f32_e32 v52, v26, v24
	s_delay_alu instid0(VALU_DEP_4) | instskip(NEXT) | instid1(VALU_DEP_3)
	v_dual_add_f32 v50, v51, v53 :: v_dual_fmamk_f32 v51, v16, 0xbeedf032, v30
	v_mul_f32_e32 v53, 0xbf7e222b, v49
	v_add_f32_e32 v27, v27, v28
	v_fma_f32 v28, 0x3f62ad3f, v56, -v48
	v_fmac_f32_e32 v30, 0x3eedf032, v16
	v_sub_f32_e32 v16, v26, v24
	v_fmamk_f32 v24, v52, 0x3df6dbef, v53
	s_delay_alu instid0(VALU_DEP_4) | instskip(NEXT) | instid1(VALU_DEP_4)
	v_dual_mul_f32 v48, 0xbf788fa5, v27 :: v_dual_add_f32 v13, v28, v13
	v_add_f32_e32 v14, v30, v14
	v_fma_f32 v30, 0x3df6dbef, v52, -v53
	v_mul_f32_e32 v26, 0x3df6dbef, v27
	v_dual_add_f32 v15, v24, v15 :: v_dual_mul_f32 v28, 0xbe750f2a, v49
	s_delay_alu instid0(VALU_DEP_3) | instskip(NEXT) | instid1(VALU_DEP_3)
	v_dual_add_f32 v32, v51, v32 :: v_dual_add_f32 v25, v30, v25
	v_fmamk_f32 v24, v16, 0x3f7e222b, v26
	v_fmac_f32_e32 v26, 0xbf7e222b, v16
	v_mul_f32_e32 v30, 0x3f6f5d39, v49
	s_delay_alu instid0(VALU_DEP_3) | instskip(SKIP_1) | instid1(VALU_DEP_4)
	v_dual_mul_f32 v51, 0x3f62ad3f, v27 :: v_dual_add_f32 v18, v24, v18
	v_fmamk_f32 v24, v52, 0xbf788fa5, v28
	v_dual_add_f32 v26, v26, v29 :: v_dual_fmamk_f32 v29, v16, 0x3e750f2a, v48
	s_delay_alu instid0(VALU_DEP_2) | instskip(SKIP_1) | instid1(VALU_DEP_3)
	v_add_f32_e32 v24, v24, v31
	v_fmamk_f32 v31, v52, 0xbeb58ec6, v30
	v_add_f32_e32 v29, v29, v33
	v_mul_f32_e32 v33, 0xbeb58ec6, v27
	s_delay_alu instid0(VALU_DEP_3) | instskip(NEXT) | instid1(VALU_DEP_2)
	v_add_f32_e32 v31, v31, v37
	v_fmamk_f32 v37, v16, 0xbf6f5d39, v33
	v_fmac_f32_e32 v33, 0x3f6f5d39, v16
	v_fma_f32 v30, 0xbeb58ec6, v52, -v30
	s_delay_alu instid0(VALU_DEP_1)
	v_dual_add_f32 v33, v33, v38 :: v_dual_add_f32 v30, v30, v35
	v_fmac_f32_e32 v48, 0xbe750f2a, v16
	v_add_f32_e32 v37, v37, v40
	v_fma_f32 v28, 0xbf788fa5, v52, -v28
	v_fmamk_f32 v38, v16, 0xbeedf032, v51
	v_fmac_f32_e32 v51, 0x3eedf032, v16
	s_delay_alu instid0(VALU_DEP_3) | instskip(NEXT) | instid1(VALU_DEP_3)
	v_add_f32_e32 v21, v28, v21
	v_add_f32_e32 v38, v38, v41
	;; [unrolled: 1-line block ×3, first 2 shown]
	v_mul_f32_e32 v34, 0x3eedf032, v49
	s_delay_alu instid0(VALU_DEP_1) | instskip(NEXT) | instid1(VALU_DEP_1)
	v_fmamk_f32 v48, v52, 0x3f62ad3f, v34
	v_add_f32_e32 v35, v48, v39
	v_mul_f32_e32 v39, 0xbf52af12, v49
	v_mul_f32_e32 v40, 0x3f116cb1, v27
	v_fma_f32 v34, 0x3f62ad3f, v52, -v34
	v_mul_f32_e32 v27, 0xbf3f9e67, v27
	v_mul_f32_e32 v48, 0xbf29c268, v49
	v_fmamk_f32 v41, v52, 0x3f116cb1, v39
	v_fma_f32 v39, 0x3f116cb1, v52, -v39
	v_add_f32_e32 v34, v34, v36
	v_fmamk_f32 v36, v16, 0x3f52af12, v40
	s_delay_alu instid0(VALU_DEP_4) | instskip(NEXT) | instid1(VALU_DEP_4)
	v_dual_fmac_f32 v40, 0xbf52af12, v16 :: v_dual_add_f32 v41, v41, v47
	v_add_f32_e32 v39, v39, v43
	v_dual_sub_f32 v43, v17, v23 :: v_dual_add_f32 v46, v51, v46
	v_add_f32_e32 v47, v45, v22
	v_dual_add_f32 v17, v17, v23 :: v_dual_add_f32 v36, v36, v42
	s_delay_alu instid0(VALU_DEP_3) | instskip(SKIP_2) | instid1(VALU_DEP_3)
	v_dual_mul_f32 v49, 0xbf6f5d39, v43 :: v_dual_add_f32 v40, v40, v44
	v_fmamk_f32 v44, v16, 0x3f29c268, v27
	v_dual_fmac_f32 v27, 0xbf29c268, v16 :: v_dual_sub_f32 v16, v45, v22
	v_fmamk_f32 v22, v47, 0xbeb58ec6, v49
	v_fmamk_f32 v42, v52, 0xbf3f9e67, v48
	v_mul_f32_e32 v45, 0xbeb58ec6, v17
	v_fma_f32 v23, 0xbf3f9e67, v52, -v48
	s_delay_alu instid0(VALU_DEP_4) | instskip(NEXT) | instid1(VALU_DEP_4)
	v_add_f32_e32 v15, v22, v15
	v_add_f32_e32 v42, v42, v50
	s_delay_alu instid0(VALU_DEP_4) | instskip(SKIP_2) | instid1(VALU_DEP_3)
	v_fmamk_f32 v22, v16, 0x3f6f5d39, v45
	v_fmac_f32_e32 v45, 0xbf6f5d39, v16
	v_add_f32_e32 v13, v23, v13
	v_dual_mul_f32 v23, 0x3f29c268, v43 :: v_dual_add_f32 v18, v22, v18
	s_delay_alu instid0(VALU_DEP_3) | instskip(SKIP_2) | instid1(VALU_DEP_4)
	v_dual_add_f32 v26, v45, v26 :: v_dual_mul_f32 v45, 0x3eedf032, v43
	v_add_f32_e32 v14, v27, v14
	v_fma_f32 v27, 0xbeb58ec6, v47, -v49
	v_fmamk_f32 v22, v47, 0xbf3f9e67, v23
	v_fma_f32 v23, 0xbf3f9e67, v47, -v23
	s_delay_alu instid0(VALU_DEP_3) | instskip(SKIP_1) | instid1(VALU_DEP_3)
	v_dual_add_f32 v25, v27, v25 :: v_dual_add_f32 v32, v44, v32
	v_mul_f32_e32 v44, 0xbf3f9e67, v17
	v_dual_add_f32 v22, v22, v24 :: v_dual_add_f32 v21, v23, v21
	s_delay_alu instid0(VALU_DEP_2) | instskip(NEXT) | instid1(VALU_DEP_1)
	v_fmamk_f32 v27, v16, 0xbf29c268, v44
	v_add_f32_e32 v24, v27, v29
	v_fmamk_f32 v27, v47, 0x3f62ad3f, v45
	v_mul_f32_e32 v29, 0x3f62ad3f, v17
	s_delay_alu instid0(VALU_DEP_2) | instskip(NEXT) | instid1(VALU_DEP_2)
	v_add_f32_e32 v27, v27, v31
	v_fmamk_f32 v31, v16, 0xbeedf032, v29
	v_fmac_f32_e32 v29, 0x3eedf032, v16
	s_delay_alu instid0(VALU_DEP_2) | instskip(NEXT) | instid1(VALU_DEP_2)
	v_dual_fmac_f32 v44, 0x3f29c268, v16 :: v_dual_add_f32 v31, v31, v37
	v_add_f32_e32 v29, v29, v33
	s_delay_alu instid0(VALU_DEP_2) | instskip(SKIP_3) | instid1(VALU_DEP_4)
	v_dual_add_f32 v23, v44, v28 :: v_dual_mul_f32 v28, 0xbf7e222b, v43
	v_fma_f32 v44, 0x3f62ad3f, v47, -v45
	v_mul_f32_e32 v37, 0x3e750f2a, v43
	v_mul_f32_e32 v43, 0x3f52af12, v43
	v_dual_fmamk_f32 v45, v47, 0x3df6dbef, v28 :: v_dual_mul_f32 v48, 0x3df6dbef, v17
	s_delay_alu instid0(VALU_DEP_1) | instskip(NEXT) | instid1(VALU_DEP_2)
	v_dual_add_f32 v30, v44, v30 :: v_dual_add_f32 v33, v45, v35
	v_fmamk_f32 v35, v16, 0x3f7e222b, v48
	s_delay_alu instid0(VALU_DEP_1) | instskip(SKIP_3) | instid1(VALU_DEP_2)
	v_add_f32_e32 v35, v35, v38
	v_fmamk_f32 v38, v47, 0xbf788fa5, v37
	v_fma_f32 v37, 0xbf788fa5, v47, -v37
	v_fma_f32 v28, 0x3df6dbef, v47, -v28
	v_dual_fmac_f32 v48, 0xbf7e222b, v16 :: v_dual_add_f32 v37, v37, v39
	s_delay_alu instid0(VALU_DEP_1) | instskip(NEXT) | instid1(VALU_DEP_3)
	v_dual_mul_f32 v44, 0xbf788fa5, v17 :: v_dual_add_f32 v45, v48, v46
	v_dual_add_f32 v28, v28, v34 :: v_dual_mul_f32 v17, 0x3f116cb1, v17
	v_sub_f32_e32 v39, v12, v19
	s_delay_alu instid0(VALU_DEP_3) | instskip(NEXT) | instid1(VALU_DEP_3)
	v_fmamk_f32 v34, v16, 0xbe750f2a, v44
	v_dual_add_f32 v38, v38, v41 :: v_dual_fmamk_f32 v41, v16, 0xbf52af12, v17
	v_fmac_f32_e32 v17, 0x3f52af12, v16
	s_delay_alu instid0(VALU_DEP_3) | instskip(SKIP_1) | instid1(VALU_DEP_1)
	v_add_f32_e32 v34, v34, v36
	v_fmamk_f32 v36, v47, 0x3f116cb1, v43
	v_add_f32_e32 v36, v36, v42
	v_add_f32_e32 v42, v11, v20
	v_dual_sub_f32 v11, v11, v20 :: v_dual_add_f32 v12, v12, v19
	v_fma_f32 v19, 0x3f116cb1, v47, -v43
	v_fmac_f32_e32 v44, 0x3e750f2a, v16
	v_add_f32_e32 v32, v41, v32
	s_delay_alu instid0(VALU_DEP_4) | instskip(NEXT) | instid1(VALU_DEP_3)
	v_dual_add_f32 v14, v17, v14 :: v_dual_mul_f32 v41, 0x3df6dbef, v12
	v_dual_add_f32 v13, v19, v13 :: v_dual_add_f32 v40, v44, v40
	v_mul_f32_e32 v17, 0x3f7e222b, v39
	v_mul_f32_e32 v44, 0xbf29c268, v39
	s_delay_alu instid0(VALU_DEP_1) | instskip(NEXT) | instid1(VALU_DEP_1)
	v_fma_f32 v19, 0xbf3f9e67, v42, -v44
	v_dual_add_f32 v19, v19, v25 :: v_dual_fmamk_f32 v16, v42, 0xbf3f9e67, v44
	v_fmamk_f32 v25, v11, 0xbf7e222b, v41
	v_fmac_f32_e32 v41, 0x3f7e222b, v11
	v_mul_f32_e32 v20, 0xbf3f9e67, v12
	v_mul_f32_e32 v43, 0xbf788fa5, v12
	s_delay_alu instid0(VALU_DEP_2) | instskip(NEXT) | instid1(VALU_DEP_1)
	v_dual_add_f32 v15, v16, v15 :: v_dual_fmamk_f32 v16, v11, 0x3f29c268, v20
	v_add_f32_e32 v16, v16, v18
	v_fmamk_f32 v18, v42, 0x3df6dbef, v17
	v_fma_f32 v17, 0x3df6dbef, v42, -v17
	s_delay_alu instid0(VALU_DEP_1) | instskip(SKIP_3) | instid1(VALU_DEP_2)
	v_dual_add_f32 v18, v18, v22 :: v_dual_add_f32 v17, v17, v21
	v_add_f32_e32 v21, v41, v23
	v_dual_mul_f32 v23, 0x3e750f2a, v39 :: v_dual_add_f32 v22, v25, v24
	v_mul_f32_e32 v25, 0x3f116cb1, v12
	v_fmamk_f32 v41, v42, 0xbf788fa5, v23
	v_fmac_f32_e32 v20, 0xbf29c268, v11
	v_fma_f32 v23, 0xbf788fa5, v42, -v23
	s_delay_alu instid0(VALU_DEP_2) | instskip(NEXT) | instid1(VALU_DEP_2)
	v_add_f32_e32 v20, v20, v26
	v_dual_mul_f32 v26, 0xbf52af12, v39 :: v_dual_add_f32 v23, v23, v28
	s_delay_alu instid0(VALU_DEP_1) | instskip(SKIP_1) | instid1(VALU_DEP_2)
	v_fmamk_f32 v24, v42, 0x3f116cb1, v26
	v_fma_f32 v26, 0x3f116cb1, v42, -v26
	v_dual_add_f32 v24, v24, v27 :: v_dual_fmamk_f32 v27, v11, 0x3f52af12, v25
	s_delay_alu instid0(VALU_DEP_2) | instskip(SKIP_1) | instid1(VALU_DEP_3)
	v_dual_fmac_f32 v25, 0xbf52af12, v11 :: v_dual_add_f32 v26, v26, v30
	v_fmamk_f32 v30, v11, 0xbe750f2a, v43
	v_add_f32_e32 v27, v27, v31
	s_delay_alu instid0(VALU_DEP_3) | instskip(SKIP_4) | instid1(VALU_DEP_3)
	v_add_f32_e32 v25, v25, v29
	v_add_f32_e32 v29, v41, v33
	v_mul_f32_e32 v31, 0x3eedf032, v39
	v_dual_mul_f32 v33, 0x3f62ad3f, v12 :: v_dual_add_f32 v30, v30, v35
	v_mul_f32_e32 v39, 0xbf6f5d39, v39
	v_fmamk_f32 v35, v42, 0x3f62ad3f, v31
	s_delay_alu instid0(VALU_DEP_3) | instskip(SKIP_2) | instid1(VALU_DEP_4)
	v_fmamk_f32 v28, v11, 0xbeedf032, v33
	v_fma_f32 v31, 0x3f62ad3f, v42, -v31
	v_fmac_f32_e32 v33, 0x3eedf032, v11
	v_dual_mul_f32 v12, 0xbeb58ec6, v12 :: v_dual_add_f32 v35, v35, v38
	v_add_f32_e32 v38, v7, v8
	s_delay_alu instid0(VALU_DEP_4) | instskip(SKIP_4) | instid1(VALU_DEP_4)
	v_add_f32_e32 v31, v31, v37
	v_sub_f32_e32 v37, v9, v10
	v_dual_add_f32 v33, v33, v40 :: v_dual_add_f32 v28, v28, v34
	v_fmamk_f32 v34, v42, 0xbeb58ec6, v39
	v_fmac_f32_e32 v43, 0x3e750f2a, v11
	v_mul_f32_e32 v40, 0xbe750f2a, v37
	s_delay_alu instid0(VALU_DEP_2) | instskip(SKIP_2) | instid1(VALU_DEP_2)
	v_dual_add_f32 v34, v34, v36 :: v_dual_add_f32 v41, v43, v45
	v_dual_fmamk_f32 v36, v11, 0x3f6f5d39, v12 :: v_dual_add_f32 v43, v9, v10
	v_fmac_f32_e32 v12, 0xbf6f5d39, v11
	v_add_f32_e32 v32, v36, v32
	v_fma_f32 v9, 0xbeb58ec6, v42, -v39
	v_sub_f32_e32 v39, v7, v8
	v_dual_fmamk_f32 v7, v38, 0xbf788fa5, v40 :: v_dual_mul_f32 v10, 0xbf788fa5, v43
	v_add_f32_e32 v42, v12, v14
	s_delay_alu instid0(VALU_DEP_4)
	v_add_f32_e32 v36, v9, v13
	v_mul_f32_e32 v12, 0x3eedf032, v37
	v_fma_f32 v9, 0xbf788fa5, v38, -v40
	v_fmamk_f32 v8, v39, 0x3e750f2a, v10
	v_mul_f32_e32 v14, 0x3f62ad3f, v43
	v_add_f32_e32 v7, v7, v15
	v_fmamk_f32 v11, v38, 0x3f62ad3f, v12
	s_delay_alu instid0(VALU_DEP_4) | instskip(NEXT) | instid1(VALU_DEP_4)
	v_dual_add_f32 v9, v9, v19 :: v_dual_add_f32 v8, v8, v16
	v_fmamk_f32 v13, v39, 0xbeedf032, v14
	v_fma_f32 v15, 0x3f62ad3f, v38, -v12
	v_fmac_f32_e32 v10, 0xbe750f2a, v39
	v_mul_f32_e32 v19, 0xbf3f9e67, v43
	v_mul_f32_e32 v16, 0xbf29c268, v37
	s_delay_alu instid0(VALU_DEP_4) | instskip(NEXT) | instid1(VALU_DEP_4)
	v_dual_add_f32 v12, v13, v22 :: v_dual_add_f32 v13, v15, v17
	v_dual_add_f32 v10, v10, v20 :: v_dual_add_f32 v11, v11, v18
	s_delay_alu instid0(VALU_DEP_4) | instskip(SKIP_3) | instid1(VALU_DEP_2)
	v_fmamk_f32 v17, v39, 0x3f29c268, v19
	v_fmac_f32_e32 v19, 0xbf29c268, v39
	v_fmamk_f32 v18, v38, 0xbf3f9e67, v16
	v_mul_f32_e32 v20, 0x3f52af12, v37
	v_dual_mul_f32 v22, 0x3f116cb1, v43 :: v_dual_add_f32 v15, v18, v24
	v_fma_f32 v18, 0xbf3f9e67, v38, -v16
	v_fmac_f32_e32 v14, 0x3eedf032, v39
	v_add_f32_e32 v16, v17, v27
	v_fma_f32 v24, 0x3f116cb1, v38, -v20
	v_mul_f32_e32 v27, 0x3f7e222b, v37
	v_add_f32_e32 v17, v18, v26
	v_add_f32_e32 v14, v14, v21
	v_dual_fmamk_f32 v21, v38, 0x3f116cb1, v20 :: v_dual_add_f32 v18, v19, v25
	v_mul_f32_e32 v25, 0xbf6f5d39, v37
	s_delay_alu instid0(VALU_DEP_2) | instskip(SKIP_1) | instid1(VALU_DEP_1)
	v_dual_mul_f32 v26, 0xbeb58ec6, v43 :: v_dual_add_f32 v19, v21, v29
	v_fmamk_f32 v21, v39, 0xbf52af12, v22
	v_dual_add_f32 v20, v21, v30 :: v_dual_add_f32 v21, v24, v23
	s_delay_alu instid0(VALU_DEP_4)
	v_fmamk_f32 v23, v38, 0xbeb58ec6, v25
	v_fma_f32 v25, 0xbeb58ec6, v38, -v25
	v_fmamk_f32 v24, v39, 0x3f6f5d39, v26
	v_mul_f32_e32 v30, 0x3df6dbef, v43
	v_fmac_f32_e32 v26, 0xbf6f5d39, v39
	v_add_f32_e32 v23, v23, v35
	s_delay_alu instid0(VALU_DEP_4) | instskip(NEXT) | instid1(VALU_DEP_4)
	v_dual_add_f32 v25, v25, v31 :: v_dual_add_f32 v24, v24, v28
	v_fmamk_f32 v29, v39, 0xbf7e222b, v30
	v_fmamk_f32 v28, v38, 0x3df6dbef, v27
	v_fma_f32 v31, 0x3df6dbef, v38, -v27
	v_fmac_f32_e32 v30, 0x3f7e222b, v39
	s_delay_alu instid0(VALU_DEP_3) | instskip(SKIP_2) | instid1(VALU_DEP_4)
	v_dual_add_f32 v26, v26, v33 :: v_dual_add_f32 v27, v28, v34
	v_fmac_f32_e32 v22, 0x3f52af12, v39
	v_add_f32_e32 v28, v29, v32
	v_dual_add_f32 v29, v31, v36 :: v_dual_add_f32 v30, v30, v42
	s_delay_alu instid0(VALU_DEP_3)
	v_add_f32_e32 v22, v22, v41
	ds_store_2addr_b64 v127, v[0:1], v[7:8] offset1:156
	ds_store_2addr_b64 v6, v[11:12], v[15:16] offset0:56 offset1:212
	ds_store_2addr_b64 v5, v[19:20], v[23:24] offset0:48 offset1:204
	;; [unrolled: 1-line block ×5, first 2 shown]
	ds_store_b64 v127, v[9:10] offset:14976
	global_wb scope:SCOPE_SE
	s_wait_dscnt 0x0
	s_barrier_signal -1
	s_barrier_wait -1
	global_inv scope:SCOPE_SE
	ds_load_2addr_b64 v[7:10], v127 offset1:156
	v_mad_co_u64_u32 v[23:24], null, s6, v96, 0
	v_mad_co_u64_u32 v[25:26], null, s4, v128, 0
	ds_load_b64 v[39:40], v127 offset:14976
	s_wait_dscnt 0x1
	v_mul_f32_e32 v1, v108, v7
	v_dual_mul_f32 v0, v108, v8 :: v_dual_mul_f32 v13, v110, v9
	s_delay_alu instid0(VALU_DEP_2) | instskip(NEXT) | instid1(VALU_DEP_2)
	v_fma_f32 v8, v107, v8, -v1
	v_dual_fmac_f32 v0, v107, v7 :: v_dual_mul_f32 v7, v110, v10
	s_wait_dscnt 0x0
	v_mul_f32_e32 v50, v100, v40
	v_mul_f32_e32 v51, v100, v39
	v_cvt_f64_f32_e32 v[11:12], v8
	v_fma_f32 v8, v109, v10, -v13
	s_delay_alu instid0(VALU_DEP_4) | instskip(NEXT) | instid1(VALU_DEP_4)
	v_dual_fmac_f32 v7, v109, v9 :: v_dual_fmac_f32 v50, v99, v39
	v_fma_f32 v51, v99, v40, -v51
	s_delay_alu instid0(VALU_DEP_3) | instskip(NEXT) | instid1(VALU_DEP_3)
	v_cvt_f64_f32_e32 v[15:16], v8
	v_cvt_f64_f32_e32 v[13:14], v7
	ds_load_2addr_b64 v[6:9], v6 offset0:56 offset1:212
	v_cvt_f64_f32_e32 v[51:52], v51
	s_wait_dscnt 0x0
	v_mul_f32_e32 v10, v106, v7
	s_delay_alu instid0(VALU_DEP_1) | instskip(SKIP_2) | instid1(VALU_DEP_2)
	v_fmac_f32_e32 v10, v105, v6
	s_wait_alu 0xfffe
	v_mul_f64_e32 v[17:18], s[0:1], v[11:12]
	v_cvt_f64_f32_e32 v[21:22], v10
	v_dual_mov_b32 v10, v24 :: v_dual_mov_b32 v11, v26
	v_mul_f64_e32 v[19:20], s[0:1], v[13:14]
	s_delay_alu instid0(VALU_DEP_2)
	v_mad_co_u64_u32 v[26:27], null, s7, v96, v[10:11]
	v_mad_co_u64_u32 v[27:28], null, s5, v128, v[11:12]
	ds_load_2addr_b64 v[10:13], v5 offset0:48 offset1:204
	v_mul_f64_e32 v[14:15], s[0:1], v[15:16]
	v_mov_b32_e32 v24, v26
	s_wait_dscnt 0x0
	v_dual_mov_b32 v26, v27 :: v_dual_mul_f32 v35, v89, v13
	v_cvt_f64_f32_e32 v[0:1], v0
	s_delay_alu instid0(VALU_DEP_2) | instskip(SKIP_2) | instid1(VALU_DEP_3)
	v_fmac_f32_e32 v35, v88, v12
	v_cvt_f32_f64_e32 v17, v[17:18]
	v_mul_f32_e32 v12, v89, v12
	v_cvt_f64_f32_e32 v[35:36], v35
	s_delay_alu instid0(VALU_DEP_2) | instskip(SKIP_4) | instid1(VALU_DEP_1)
	v_fma_f32 v12, v88, v13, -v12
	v_cvt_f32_f64_e32 v18, v[19:20]
	v_cvt_f32_f64_e32 v19, v[14:15]
	v_mul_f64_e32 v[14:15], s[0:1], v[21:22]
	v_mul_f32_e32 v22, v104, v11
	v_fmac_f32_e32 v22, v103, v10
	s_delay_alu instid0(VALU_DEP_1) | instskip(SKIP_3) | instid1(VALU_DEP_3)
	v_cvt_f64_f32_e32 v[31:32], v22
	v_mul_f64_e32 v[0:1], s[0:1], v[0:1]
	v_mul_f64_e32 v[35:36], s[0:1], v[35:36]
	v_cvt_f32_f64_e32 v14, v[14:15]
	v_cvt_f32_f64_e32 v16, v[0:1]
	v_mul_f32_e32 v0, v106, v6
	v_mul_f32_e32 v1, v102, v9
	s_delay_alu instid0(VALU_DEP_2)
	v_fma_f32 v0, v105, v7, -v0
	ds_load_2addr_b64 v[4:7], v4 offset0:40 offset1:196
	v_fmac_f32_e32 v1, v101, v8
	v_cvt_f64_f32_e32 v[20:21], v0
	v_mul_f32_e32 v0, v102, v8
	v_mul_f32_e32 v8, v104, v10
	s_delay_alu instid0(VALU_DEP_4) | instskip(NEXT) | instid1(VALU_DEP_3)
	v_cvt_f64_f32_e32 v[27:28], v1
	v_fma_f32 v0, v101, v9, -v0
	s_delay_alu instid0(VALU_DEP_3)
	v_fma_f32 v1, v103, v11, -v8
	ds_load_2addr_b64 v[8:11], v3 offset0:96 offset1:252
	v_cvt_f64_f32_e32 v[29:30], v0
	v_cvt_f64_f32_e32 v[33:34], v1
	ds_load_2addr_b64 v[0:3], v2 offset0:24 offset1:180
	s_wait_dscnt 0x2
	v_mul_f32_e32 v22, v93, v5
	v_mul_f32_e32 v38, v95, v7
	;; [unrolled: 1-line block ×4, first 2 shown]
	s_delay_alu instid0(VALU_DEP_4) | instskip(NEXT) | instid1(VALU_DEP_4)
	v_fmac_f32_e32 v22, v92, v4
	v_fmac_f32_e32 v38, v94, v6
	s_delay_alu instid0(VALU_DEP_4) | instskip(NEXT) | instid1(VALU_DEP_4)
	v_fma_f32 v41, v94, v7, -v13
	v_fma_f32 v37, v92, v5, -v37
	v_cvt_f64_f32_e32 v[4:5], v12
	v_cvt_f64_f32_e32 v[6:7], v22
	s_wait_dscnt 0x1
	v_dual_mul_f32 v45, v91, v10 :: v_dual_mul_f32 v22, v85, v9
	v_dual_mul_f32 v43, v85, v8 :: v_dual_mul_f32 v44, v91, v11
	v_cvt_f64_f32_e32 v[12:13], v37
	s_wait_dscnt 0x0
	s_delay_alu instid0(VALU_DEP_3) | instskip(NEXT) | instid1(VALU_DEP_3)
	v_dual_mul_f32 v47, v87, v1 :: v_dual_fmac_f32 v22, v84, v8
	v_fma_f32 v43, v84, v9, -v43
	v_mul_f32_e32 v49, v98, v2
	v_fmac_f32_e32 v44, v90, v10
	s_delay_alu instid0(VALU_DEP_4)
	v_fmac_f32_e32 v47, v86, v0
	v_mul_f32_e32 v0, v87, v0
	v_cvt_f64_f32_e32 v[8:9], v22
	v_mul_f32_e32 v22, v98, v3
	v_fma_f32 v45, v90, v11, -v45
	v_cvt_f64_f32_e32 v[37:38], v38
	v_cvt_f64_f32_e32 v[41:42], v41
	v_fma_f32 v0, v86, v1, -v0
	v_fmac_f32_e32 v22, v97, v2
	v_fma_f32 v49, v97, v3, -v49
	v_cvt_f64_f32_e32 v[10:11], v43
	v_cvt_f64_f32_e32 v[43:44], v44
	;; [unrolled: 1-line block ×8, first 2 shown]
	v_mul_f64_e32 v[20:21], s[0:1], v[20:21]
	v_lshlrev_b64_e32 v[23:24], 3, v[23:24]
	v_lshlrev_b64_e32 v[25:26], 3, v[25:26]
	s_delay_alu instid0(VALU_DEP_2)
	v_add_co_u32 v53, vcc_lo, s2, v23
	v_mul_f64_e32 v[22:23], s[0:1], v[27:28]
	v_mul_f64_e32 v[27:28], s[0:1], v[29:30]
	s_wait_alu 0xfffd
	v_add_co_ci_u32_e32 v54, vcc_lo, s3, v24, vcc_lo
	v_add_co_u32 v24, vcc_lo, v53, v25
	v_mul_f64_e32 v[29:30], s[0:1], v[31:32]
	v_mul_f64_e32 v[31:32], s[0:1], v[33:34]
	;; [unrolled: 1-line block ×3, first 2 shown]
	s_wait_alu 0xfffd
	v_add_co_ci_u32_e32 v25, vcc_lo, v54, v26, vcc_lo
	s_mul_u64 s[2:3], s[4:5], 0x4e0
	v_mul_f64_e32 v[6:7], s[0:1], v[6:7]
	s_wait_alu 0xfffe
	v_add_co_u32 v33, vcc_lo, v24, s2
	v_mul_f64_e32 v[12:13], s[0:1], v[12:13]
	s_wait_alu 0xfffd
	v_add_co_ci_u32_e32 v34, vcc_lo, s3, v25, vcc_lo
	s_clause 0x1
	global_store_b64 v[24:25], v[16:17], off
	global_store_b64 v[33:34], v[18:19], off
	v_mul_f64_e32 v[16:17], s[0:1], v[37:38]
	v_mul_f64_e32 v[18:19], s[0:1], v[41:42]
	;; [unrolled: 1-line block ×12, first 2 shown]
	v_cvt_f32_f64_e32 v15, v[20:21]
	v_add_co_u32 v20, vcc_lo, v33, s2
	s_wait_alu 0xfffd
	v_add_co_ci_u32_e32 v21, vcc_lo, s3, v34, vcc_lo
	v_cvt_f32_f64_e32 v22, v[22:23]
	v_cvt_f32_f64_e32 v23, v[27:28]
	v_add_co_u32 v26, vcc_lo, v20, s2
	s_wait_alu 0xfffd
	v_add_co_ci_u32_e32 v27, vcc_lo, s3, v21, vcc_lo
	v_cvt_f32_f64_e32 v28, v[29:30]
	v_cvt_f32_f64_e32 v29, v[31:32]
	;; [unrolled: 1-line block ×4, first 2 shown]
	v_add_co_u32 v30, vcc_lo, v26, s2
	v_cvt_f32_f64_e32 v4, v[6:7]
	s_wait_alu 0xfffd
	v_add_co_ci_u32_e32 v31, vcc_lo, s3, v27, vcc_lo
	v_cvt_f32_f64_e32 v5, v[12:13]
	v_add_co_u32 v6, vcc_lo, v30, s2
	s_wait_alu 0xfffd
	s_delay_alu instid0(VALU_DEP_3)
	v_add_co_ci_u32_e32 v7, vcc_lo, s3, v31, vcc_lo
	v_cvt_f32_f64_e32 v12, v[16:17]
	v_cvt_f32_f64_e32 v13, v[18:19]
	;; [unrolled: 1-line block ×12, first 2 shown]
	v_add_co_u32 v18, vcc_lo, v6, s2
	s_wait_alu 0xfffd
	v_add_co_ci_u32_e32 v19, vcc_lo, s3, v7, vcc_lo
	global_store_b64 v[20:21], v[14:15], off
	v_add_co_u32 v14, vcc_lo, v18, s2
	s_wait_alu 0xfffd
	v_add_co_ci_u32_e32 v15, vcc_lo, s3, v19, vcc_lo
	global_store_b64 v[26:27], v[22:23], off
	;; [unrolled: 4-line block ×7, first 2 shown]
	global_store_b64 v[22:23], v[10:11], off
	global_store_b64 v[6:7], v[16:17], off
	;; [unrolled: 1-line block ×4, first 2 shown]
.LBB0_18:
	s_nop 0
	s_sendmsg sendmsg(MSG_DEALLOC_VGPRS)
	s_endpgm
	.section	.rodata,"a",@progbits
	.p2align	6, 0x0
	.amdhsa_kernel bluestein_single_back_len2028_dim1_sp_op_CI_CI
		.amdhsa_group_segment_fixed_size 16224
		.amdhsa_private_segment_fixed_size 0
		.amdhsa_kernarg_size 104
		.amdhsa_user_sgpr_count 2
		.amdhsa_user_sgpr_dispatch_ptr 0
		.amdhsa_user_sgpr_queue_ptr 0
		.amdhsa_user_sgpr_kernarg_segment_ptr 1
		.amdhsa_user_sgpr_dispatch_id 0
		.amdhsa_user_sgpr_private_segment_size 0
		.amdhsa_wavefront_size32 1
		.amdhsa_uses_dynamic_stack 0
		.amdhsa_enable_private_segment 0
		.amdhsa_system_sgpr_workgroup_id_x 1
		.amdhsa_system_sgpr_workgroup_id_y 0
		.amdhsa_system_sgpr_workgroup_id_z 0
		.amdhsa_system_sgpr_workgroup_info 0
		.amdhsa_system_vgpr_workitem_id 0
		.amdhsa_next_free_vgpr 210
		.amdhsa_next_free_sgpr 20
		.amdhsa_reserve_vcc 1
		.amdhsa_float_round_mode_32 0
		.amdhsa_float_round_mode_16_64 0
		.amdhsa_float_denorm_mode_32 3
		.amdhsa_float_denorm_mode_16_64 3
		.amdhsa_fp16_overflow 0
		.amdhsa_workgroup_processor_mode 1
		.amdhsa_memory_ordered 1
		.amdhsa_forward_progress 0
		.amdhsa_round_robin_scheduling 0
		.amdhsa_exception_fp_ieee_invalid_op 0
		.amdhsa_exception_fp_denorm_src 0
		.amdhsa_exception_fp_ieee_div_zero 0
		.amdhsa_exception_fp_ieee_overflow 0
		.amdhsa_exception_fp_ieee_underflow 0
		.amdhsa_exception_fp_ieee_inexact 0
		.amdhsa_exception_int_div_zero 0
	.end_amdhsa_kernel
	.text
.Lfunc_end0:
	.size	bluestein_single_back_len2028_dim1_sp_op_CI_CI, .Lfunc_end0-bluestein_single_back_len2028_dim1_sp_op_CI_CI
                                        ; -- End function
	.section	.AMDGPU.csdata,"",@progbits
; Kernel info:
; codeLenInByte = 20984
; NumSgprs: 22
; NumVgprs: 210
; ScratchSize: 0
; MemoryBound: 0
; FloatMode: 240
; IeeeMode: 1
; LDSByteSize: 16224 bytes/workgroup (compile time only)
; SGPRBlocks: 2
; VGPRBlocks: 26
; NumSGPRsForWavesPerEU: 22
; NumVGPRsForWavesPerEU: 210
; Occupancy: 7
; WaveLimiterHint : 1
; COMPUTE_PGM_RSRC2:SCRATCH_EN: 0
; COMPUTE_PGM_RSRC2:USER_SGPR: 2
; COMPUTE_PGM_RSRC2:TRAP_HANDLER: 0
; COMPUTE_PGM_RSRC2:TGID_X_EN: 1
; COMPUTE_PGM_RSRC2:TGID_Y_EN: 0
; COMPUTE_PGM_RSRC2:TGID_Z_EN: 0
; COMPUTE_PGM_RSRC2:TIDIG_COMP_CNT: 0
	.text
	.p2alignl 7, 3214868480
	.fill 96, 4, 3214868480
	.type	__hip_cuid_1e269385a04cb77b,@object ; @__hip_cuid_1e269385a04cb77b
	.section	.bss,"aw",@nobits
	.globl	__hip_cuid_1e269385a04cb77b
__hip_cuid_1e269385a04cb77b:
	.byte	0                               ; 0x0
	.size	__hip_cuid_1e269385a04cb77b, 1

	.ident	"AMD clang version 19.0.0git (https://github.com/RadeonOpenCompute/llvm-project roc-6.4.0 25133 c7fe45cf4b819c5991fe208aaa96edf142730f1d)"
	.section	".note.GNU-stack","",@progbits
	.addrsig
	.addrsig_sym __hip_cuid_1e269385a04cb77b
	.amdgpu_metadata
---
amdhsa.kernels:
  - .args:
      - .actual_access:  read_only
        .address_space:  global
        .offset:         0
        .size:           8
        .value_kind:     global_buffer
      - .actual_access:  read_only
        .address_space:  global
        .offset:         8
        .size:           8
        .value_kind:     global_buffer
      - .actual_access:  read_only
        .address_space:  global
        .offset:         16
        .size:           8
        .value_kind:     global_buffer
      - .actual_access:  read_only
        .address_space:  global
        .offset:         24
        .size:           8
        .value_kind:     global_buffer
      - .actual_access:  read_only
        .address_space:  global
        .offset:         32
        .size:           8
        .value_kind:     global_buffer
      - .offset:         40
        .size:           8
        .value_kind:     by_value
      - .address_space:  global
        .offset:         48
        .size:           8
        .value_kind:     global_buffer
      - .address_space:  global
        .offset:         56
        .size:           8
        .value_kind:     global_buffer
      - .address_space:  global
        .offset:         64
        .size:           8
        .value_kind:     global_buffer
      - .address_space:  global
        .offset:         72
        .size:           8
        .value_kind:     global_buffer
      - .offset:         80
        .size:           4
        .value_kind:     by_value
      - .address_space:  global
        .offset:         88
        .size:           8
        .value_kind:     global_buffer
      - .address_space:  global
        .offset:         96
        .size:           8
        .value_kind:     global_buffer
    .group_segment_fixed_size: 16224
    .kernarg_segment_align: 8
    .kernarg_segment_size: 104
    .language:       OpenCL C
    .language_version:
      - 2
      - 0
    .max_flat_workgroup_size: 156
    .name:           bluestein_single_back_len2028_dim1_sp_op_CI_CI
    .private_segment_fixed_size: 0
    .sgpr_count:     22
    .sgpr_spill_count: 0
    .symbol:         bluestein_single_back_len2028_dim1_sp_op_CI_CI.kd
    .uniform_work_group_size: 1
    .uses_dynamic_stack: false
    .vgpr_count:     210
    .vgpr_spill_count: 0
    .wavefront_size: 32
    .workgroup_processor_mode: 1
amdhsa.target:   amdgcn-amd-amdhsa--gfx1201
amdhsa.version:
  - 1
  - 2
...

	.end_amdgpu_metadata
